;; amdgpu-corpus repo=ROCm/aiter kind=harvested arch=n/a opt=n/a

/root/src/amdgpu-assembly/repos/ROCm__aiter/hsa/gfx942/fmha_v3_fwd/MI308/fwd_hd192x128_bf16_rtz_group.co:	file format elf64-amdgpu

Disassembly of section .text:

0000000000003300 <_ZN5aiter33fmha_fwd_hd192x128_bf16_rtz_groupE>:
	s_and_b32 s1, s1, 0xffff                                   // 000000003300: 8601FF01 0000FFFF
	s_load_dwordx2 s[20:21], s[0:1], 0x0                       // 000000003308: C0060500 00000000
	s_load_dwordx2 s[8:9], s[0:1], 0x10                        // 000000003310: C0060200 00000010
	s_load_dwordx2 s[12:13], s[0:1], 0x20                      // 000000003318: C0060300 00000020
	s_load_dwordx2 s[16:17], s[0:1], 0x30                      // 000000003320: C0060400 00000030
	s_load_dwordx2 s[24:25], s[0:1], 0x40                      // 000000003328: C0060600 00000040
	s_load_dword s28, s[0:1], 0x50                             // 000000003330: C0020700 00000050
	s_load_dword s30, s[0:1], 0x60                             // 000000003338: C0020780 00000060
	s_load_dword s62, s[0:1], 0x70                             // 000000003340: C0020F80 00000070
	s_load_dword s31, s[0:1], 0x80                             // 000000003348: C00207C0 00000080
	s_load_dword s32, s[0:1], 0x90                             // 000000003350: C0020800 00000090
	s_load_dword s33, s[0:1], 0xa0                             // 000000003358: C0020840 000000A0
	s_load_dword s46, s[0:1], 0xb0                             // 000000003360: C0020B80 000000B0
	s_load_dword s61, s[0:1], 0xc0                             // 000000003368: C0020F40 000000C0
	s_load_dword s47, s[0:1], 0xd0                             // 000000003370: C0020BC0 000000D0
	s_load_dword s48, s[0:1], 0xe0                             // 000000003378: C0020C00 000000E0
	s_load_dword s34, s[0:1], 0xf0                             // 000000003380: C0020880 000000F0
	s_load_dword s37, s[0:1], 0x100                            // 000000003388: C0020940 00000100
	s_load_dword s7, s[0:1], 0x110                             // 000000003390: C00201C0 00000110
	s_load_dword s96, s[0:1], 0x140                            // 000000003398: C0021800 00000140
	s_load_dword s80, s[0:1], 0x150                            // 0000000033A0: C0021400 00000150
	s_load_dword s81, s[0:1], 0x160                            // 0000000033A8: C0021440 00000160
	s_load_dword s82, s[0:1], 0x170                            // 0000000033B0: C0021480 00000170
	s_load_dword s83, s[0:1], 0x180                            // 0000000033B8: C00214C0 00000180
	s_load_dword s84, s[0:1], 0x190                            // 0000000033C0: C0021500 00000190
	s_load_dword s85, s[0:1], 0x1a0                            // 0000000033C8: C0021540 000001A0
	s_load_dwordx2 s[76:77], s[0:1], 0x1b0                     // 0000000033D0: C0061300 000001B0
	s_load_dwordx2 s[78:79], s[0:1], 0x1c0                     // 0000000033D8: C0061380 000001C0
	s_load_dword s86, s[0:1], 0x1d0                            // 0000000033E0: C0021580 000001D0
	s_load_dwordx2 s[88:89], s[0:1], 0x1e0                     // 0000000033E8: C0061600 000001E0
	s_load_dwordx2 s[90:91], s[0:1], 0x1f0                     // 0000000033F0: C0061680 000001F0
	v_lshrrev_b32_e32 v1, 10, v0                               // 0000000033F8: 2002008A
	v_lshrrev_b32_e32 v2, 10, v1                               // 0000000033FC: 2004028A
	v_and_b32_e32 v2, 0x3ff, v2                                // 000000003400: 260404FF 000003FF
	v_and_b32_e32 v1, 0x3ff, v1                                // 000000003408: 260202FF 000003FF
	v_and_b32_e32 v0, 0x3ff, v0                                // 000000003410: 260000FF 000003FF
	v_lshrrev_b32_e32 v3, 6, v0                                // 000000003418: 20060086
	v_and_b32_e32 v0, 63, v0                                   // 00000000341C: 260000BF
	s_mov_b32 s2, s2                                           // 000000003420: BE820002
	s_mov_b32 s3, s3                                           // 000000003424: BE830003
	s_mov_b32 s4, s4                                           // 000000003428: BE840004
	v_readfirstlane_b32 s5, v3                                 // 00000000342C: 7E0A0503
	s_waitcnt lgkmcnt(0)                                       // 000000003430: BF8CC07F
	s_and_b32 s34, s34, 1                                      // 000000003434: 86228122
	s_nop 1                                                    // 000000003438: BF800001
	s_and_b32 s77, s77, 0xffff                                 // 00000000343C: 864DFF4D 0000FFFF
	s_and_b32 s79, s79, 0xffff                                 // 000000003444: 864FFF4F 0000FFFF
	s_and_b32 s89, s89, 0xffff                                 // 00000000344C: 8659FF59 0000FFFF
	s_and_b32 s91, s91, 0xffff                                 // 000000003454: 865BFF5B 0000FFFF
	s_mul_i32 s40, s3, 4                                       // 00000000345C: 92288403
	s_load_dword s92, s[88:89], s40                            // 000000003460: C000172C 00000028
	s_load_dword s93, s[90:91], s40                            // 000000003468: C000176D 00000028
	s_load_dword s41, s[76:77], s40                            // 000000003470: C0000A66 00000028
	s_load_dword s42, s[78:79], s40                            // 000000003478: C0000AA7 00000028
	s_add_u32 s40, s40, 4                                      // 000000003480: 80288428
	s_load_dword s94, s[76:77], s40                            // 000000003484: C00017A6 00000028
	s_load_dword s95, s[78:79], s40                            // 00000000348C: C00017E7 00000028
	s_waitcnt lgkmcnt(0)                                       // 000000003494: BF8CC07F
	s_sub_u32 s30, s94, s41                                    // 000000003498: 809E295E
	s_sub_u32 s7, s95, s42                                     // 00000000349C: 80872A5F
	s_add_i32 s40, s30, 0x7f                                   // 0000000034A0: 8128FF1E 0000007F
	s_lshr_b32 s40, s40, 7                                     // 0000000034A8: 8F288728
	s_cmp_lt_i32 s4, s40                                       // 0000000034AC: BF042804
	s_cbranch_scc0 label_0D8E                                  // 0000000034B0: BF840D21
	s_mul_i32 s40, s30, s62                                    // 0000000034B4: 92283E1E
	s_mov_b32 s10, s40                                         // 0000000034B8: BE8A0028
	s_mul_i32 s40, s30, s83                                    // 0000000034BC: 9228531E
	s_mov_b32 s22, s40                                         // 0000000034C0: BE960028
	s_mul_i32 s40, s7, s61                                     // 0000000034C4: 92283D07
	s_mov_b32 s14, s40                                         // 0000000034C8: BE8E0028
	s_mul_i32 s40, s7, s80                                     // 0000000034CC: 92285007
	s_mov_b32 s18, s40                                         // 0000000034D0: BE920028
	s_mul_i32 s40, s30, 4                                      // 0000000034D4: 9228841E
	s_mov_b32 s26, s40                                         // 0000000034D8: BE9A0028
	s_mov_b32 s23, 0x20000                                     // 0000000034DC: BE9700FF 00020000
	s_mov_b32 s11, 0x20000                                     // 0000000034E4: BE8B00FF 00020000
	s_mov_b32 s15, 0x20000                                     // 0000000034EC: BE8F00FF 00020000
	s_mov_b32 s19, 0x20000                                     // 0000000034F4: BE9300FF 00020000
	s_mov_b32 s27, 0x20000                                     // 0000000034FC: BE9B00FF 00020000
	s_and_b32 s21, s21, 0xffff                                 // 000000003504: 8615FF15 0000FFFF
	s_and_b32 s9, s9, 0xffff                                   // 00000000350C: 8609FF09 0000FFFF
	s_and_b32 s13, s13, 0xffff                                 // 000000003514: 860DFF0D 0000FFFF
	s_and_b32 s17, s17, 0xffff                                 // 00000000351C: 8611FF11 0000FFFF
	s_and_b32 s25, s25, 0xffff                                 // 000000003524: 8619FF19 0000FFFF
	s_nop 0                                                    // 00000000352C: BF800000
	s_nop 0                                                    // 000000003530: BF800000
	s_mov_b32 s64, s2                                          // 000000003534: BEC00002
	s_mov_b32 s65, s46                                         // 000000003538: BEC1002E
	v_cvt_f32_u32_e32 v40, s65                                 // 00000000353C: 7E500C41
	s_sub_i32 s40, 0, s65                                      // 000000003540: 81A84180
	v_rcp_iflag_f32_e32 v40, v40                               // 000000003544: 7E504728
	s_nop 0                                                    // 000000003548: BF800000
	v_mul_f32_e32 v40, 0x4f7ffffe, v40                         // 00000000354C: 0A5050FF 4F7FFFFE
	v_cvt_u32_f32_e32 v40, v40                                 // 000000003554: 7E500F28
	v_mul_lo_u32 v41, s40, v40                                 // 000000003558: D2850029 00025028
	v_mul_hi_u32 v41, v40, v41                                 // 000000003560: D2860029 00025328
	v_add_u32_e32 v40, v40, v41                                // 000000003568: 68505328
	v_mul_hi_u32 v40, s64, v40                                 // 00000000356C: D2860028 00025040
	v_mul_lo_u32 v41, v40, s65                                 // 000000003574: D2850029 00008328
	v_sub_u32_e32 v43, s64, v41                                // 00000000357C: 6A565240
	v_add_u32_e32 v42, 1, v40                                  // 000000003580: 68545081
	v_cmp_le_u32_e32 vcc, s65, v43                             // 000000003584: 7D965641
	v_subrev_u32_e32 v41, s65, v43                             // 000000003588: 6C525641
	s_nop 0                                                    // 00000000358C: BF800000
	v_cndmask_b32_e32 v40, v40, v42, vcc                       // 000000003590: 00505528
	v_cndmask_b32_e32 v43, v43, v41, vcc                       // 000000003594: 0056532B
	v_add_u32_e32 v41, 1, v40                                  // 000000003598: 68525081
	v_cmp_le_u32_e32 vcc, s65, v43                             // 00000000359C: 7D965641
	s_nop 1                                                    // 0000000035A0: BF800001
	v_cndmask_b32_e32 v43, v40, v41, vcc                       // 0000000035A4: 00565328
	s_nop 3                                                    // 0000000035A8: BF800003
	v_readfirstlane_b32 s66, v43                               // 0000000035AC: 7E84052B
	s_nop 3                                                    // 0000000035B0: BF800003
	s_mov_b32 s49, 0x7060302                                   // 0000000035B4: BEB100FF 07060302
	s_mov_b32 s50, 0x5040100                                   // 0000000035BC: BEB200FF 05040100
	v_mov_b32_e32 v65, 0xffff0000                              // 0000000035C4: 7E8202FF FFFF0000
	v_mov_b32_e32 v66, 0x7fff0000                              // 0000000035CC: 7E8402FF 7FFF0000
	v_mov_b32_e32 v67, 0x7fff                                  // 0000000035D4: 7E8602FF 00007FFF
	v_lshrrev_b32_e32 v40, 5, v0                               // 0000000035DC: 20500085
	v_sub_u32_e32 v40, 1, v40                                  // 0000000035E0: 6A505081
	v_mul_i32_i24_e32 v56, 0x80, v40                           // 0000000035E4: 0C7050FF 00000080
	v_and_b32_e32 v40, 31, v0                                  // 0000000035EC: 2650009F
	v_mul_i32_i24_e32 v40, 4, v40                              // 0000000035F0: 0C505084
	v_add_u32_e32 v56, v40, v56                                // 0000000035F4: 68707128
	s_mov_b32 s60, 0                                           // 0000000035F8: BEBC0080
	s_mov_b32 s35, 0                                           // 0000000035FC: BEA30080
	s_mul_i32 s43, 32, s61                                     // 000000003600: 922B3DA0
	s_mul_i32 s44, 32, s80                                     // 000000003604: 922C50A0
	s_mul_i32 s40, s92, s62                                    // 000000003608: 92283E5C
	s_mul_hi_u32 s42, s92, s62                                 // 00000000360C: 962A3E5C
	s_and_b32 s42, s42, 0xffff                                 // 000000003610: 862AFF2A 0000FFFF
	s_mul_i32 s41, s2, s32                                     // 000000003618: 92292002
	s_add_u32 s40, s40, s41                                    // 00000000361C: 80282928
	s_add_u32 s8, s40, s8                                      // 000000003620: 80080828
	s_addc_u32 s9, s42, s9                                     // 000000003624: 8209092A
	s_mul_i32 s40, s92, s83                                    // 000000003628: 9228535C
	s_mul_hi_u32 s42, s92, s83                                 // 00000000362C: 962A535C
	s_and_b32 s42, s42, 0xffff                                 // 000000003630: 862AFF2A 0000FFFF
	s_mul_i32 s41, s2, s84                                     // 000000003638: 92295402
	s_add_u32 s40, s40, s41                                    // 00000000363C: 80282928
	s_add_u32 s20, s40, s20                                    // 000000003640: 80141428
	s_addc_u32 s21, s42, s21                                   // 000000003644: 8215152A
	s_mul_i32 s40, s2, s86                                     // 000000003648: 92285602
	s_mul_i32 s41, s92, 4                                      // 00000000364C: 9229845C
	s_add_i32 s40, s40, s41                                    // 000000003650: 81282928
	s_add_u32 s24, s40, s24                                    // 000000003654: 80181828
	s_addc_u32 s25, 0, s25                                     // 000000003658: 82191980
	s_mul_i32 s40, s93, s61                                    // 00000000365C: 92283D5D
	s_mul_hi_u32 s42, s93, s61                                 // 000000003660: 962A3D5D
	s_and_b32 s42, s42, 0xffff                                 // 000000003664: 862AFF2A 0000FFFF
	s_mul_i32 s41, s66, s47                                    // 00000000366C: 92292F42
	s_add_u32 s40, s40, s41                                    // 000000003670: 80282928
	s_add_u32 s12, s40, s12                                    // 000000003674: 800C0C28
	s_addc_u32 s13, s42, s13                                   // 000000003678: 820D0D2A
	s_mul_i32 s40, s93, s80                                    // 00000000367C: 9228505D
	s_mul_hi_u32 s42, s93, s80                                 // 000000003680: 962A505D
	s_and_b32 s42, s42, 0xffff                                 // 000000003684: 862AFF2A 0000FFFF
	s_mul_i32 s41, s66, s81                                    // 00000000368C: 92295142
	s_add_u32 s40, s40, s41                                    // 000000003690: 80282928
	s_add_u32 s16, s40, s16                                    // 000000003694: 80101028
	s_addc_u32 s17, s42, s17                                   // 000000003698: 8211112A
	s_mov_b32 s52, 0                                           // 00000000369C: BEB40080
	s_mov_b32 s53, 32                                          // 0000000036A0: BEB500A0
	s_mov_b32 s36, 0                                           // 0000000036A4: BEA40080
	s_mov_b32 s29, 0x3fb8aa3b                                  // 0000000036A8: BE9D00FF 3FB8AA3B
	v_mov_b32_e32 v55, 0xff800000                              // 0000000036B0: 7E6E02FF FF800000
	s_mov_b32 s59, 0                                           // 0000000036B8: BEBB0080
	s_lshr_b32 s54, s7, 5                                      // 0000000036BC: 8F368507
	s_lshl_b32 s54, s54, 5                                     // 0000000036C0: 8E368536
	v_lshrrev_b32_e32 v40, 5, v0                               // 0000000036C4: 20500085
	v_mul_i32_i24_e32 v54, 4, v40                              // 0000000036C8: 0C6C5084
	s_mov_b32 s38, s7                                          // 0000000036CC: BEA60007
	s_mov_b32 s39, 0                                           // 0000000036D0: BEA70080
	v_mov_b32_e32 v41, s29                                     // 0000000036D4: 7E52021D
	v_mov_b32_e32 v40, s28                                     // 0000000036D8: 7E50021C
	v_mul_f32_e32 v40, s29, v40                                // 0000000036DC: 0A50501D
	v_rcp_f32_e32 v41, v41                                     // 0000000036E0: 7E524529
	v_mov_b32_e32 v46, 0                                       // 0000000036E4: 7E5C0280
	v_mov_b32_e32 v52, 0xff7fffff                              // 0000000036E8: 7E6802FF FF7FFFFF
	v_mov_b32_e32 v44, 0                                       // 0000000036F0: 7E580280
	v_mov_b32_e32 v46, 0                                       // 0000000036F4: 7E5C0280
	v_readfirstlane_b32 s56, v40                               // 0000000036F8: 7E700528
	v_readfirstlane_b32 s45, v41                               // 0000000036FC: 7E5A0529
	v_rcp_f32_e32 v40, v40                                     // 000000003700: 7E504528
	s_nop 1                                                    // 000000003704: BF800001
	v_mul_f32_e32 v40, v52, v40                                // 000000003708: 0A505134
	v_max_f32_e32 v52, v52, v40                                // 00000000370C: 16685134
	s_mul_i32 s63, s4, s31                                     // 000000003710: 923F1F04
	v_lshrrev_b32_e32 v40, 5, v0                               // 000000003714: 20500085
	v_lshlrev_b32_e32 v40, 4, v40                              // 000000003718: 24505084
	v_mul_i32_i24_e64 v40, v40, s62                            // 00000000371C: D1060028 00007D28
	v_and_b32_e32 v4, 31, v0                                   // 000000003724: 2608009F
	v_lshlrev_b32_e32 v4, 2, v4                                // 000000003728: 24080882
	v_add_u32_e32 v4, v40, v4                                  // 00000000372C: 68080928
	s_mul_i32 s41, s5, s62                                     // 000000003730: 92293E05
	v_add_u32_e32 v4, s41, v4                                  // 000000003734: 68080829
	s_mul_i32 s40, 4, s62                                      // 000000003738: 92283E84
	v_add_u32_e32 v5, s40, v4                                  // 00000000373C: 680A0828
	v_add_u32_e32 v6, s40, v5                                  // 000000003740: 680C0A28
	v_add_u32_e32 v7, s40, v6                                  // 000000003744: 680E0C28
	v_add_u32_e32 v8, 0x80, v4                                 // 000000003748: 681008FF 00000080
	v_add_u32_e32 v9, 0x80, v5                                 // 000000003750: 68120AFF 00000080
	v_add_u32_e32 v10, 0x80, v6                                // 000000003758: 68140CFF 00000080
	v_add_u32_e32 v11, 0x80, v7                                // 000000003760: 68160EFF 00000080
	v_add_u32_e32 v12, 0x80, v8                                // 000000003768: 681810FF 00000080
	v_add_u32_e32 v13, 0x80, v9                                // 000000003770: 681A12FF 00000080
	v_add_u32_e32 v14, 0x80, v10                               // 000000003778: 681C14FF 00000080
	v_add_u32_e32 v15, 0x80, v11                               // 000000003780: 681E16FF 00000080
	v_add_u32_e32 v4, s63, v4                                  // 000000003788: 6808083F
	v_add_u32_e32 v5, s63, v5                                  // 00000000378C: 680A0A3F
	v_add_u32_e32 v6, s63, v6                                  // 000000003790: 680C0C3F
	v_add_u32_e32 v7, s63, v7                                  // 000000003794: 680E0E3F
	v_add_u32_e32 v8, s63, v8                                  // 000000003798: 6810103F
	v_add_u32_e32 v9, s63, v9                                  // 00000000379C: 6812123F
	v_add_u32_e32 v10, s63, v10                                // 0000000037A0: 6814143F
	v_add_u32_e32 v11, s63, v11                                // 0000000037A4: 6816163F
	v_add_u32_e32 v12, s63, v12                                // 0000000037A8: 6818183F
	v_add_u32_e32 v13, s63, v13                                // 0000000037AC: 681A1A3F
	v_add_u32_e32 v14, s63, v14                                // 0000000037B0: 681C1C3F
	v_add_u32_e32 v15, s63, v15                                // 0000000037B4: 681E1E3F
	s_mul_i32 s40, s5, 0x110                                   // 0000000037B8: 9228FF05 00000110
	s_add_u32 s55, 0, s40                                      // 0000000037C0: 80372880
	s_mov_b32 s57, s56                                         // 0000000037C4: BEB90038
	s_mov_b32 s40, 0                                           // 0000000037C8: BEA80080
	s_add_u32 s58, s40, s55                                    // 0000000037CC: 803A3728
	s_mul_i32 s59, 0, s62                                      // 0000000037D0: 923B3E80
	s_mov_b32 m0, s58                                          // 0000000037D4: BEFC003A
	buffer_load_dword v4, s[8:11], s59 offen lds               // 0000000037D8: E0511000 3B020004
	s_add_u32 m0, 0x440, m0                                    // 0000000037E0: 807C7CFF 00000440
	buffer_load_dword v5, s[8:11], s59 offen lds               // 0000000037E8: E0511000 3B020005
	s_add_u32 m0, 0x440, m0                                    // 0000000037F0: 807C7CFF 00000440
	buffer_load_dword v6, s[8:11], s59 offen lds               // 0000000037F8: E0511000 3B020006
	s_add_u32 m0, 0x440, m0                                    // 000000003800: 807C7CFF 00000440
	buffer_load_dword v7, s[8:11], s59 offen lds               // 000000003808: E0511000 3B020007
	s_add_u32 m0, 0x440, m0                                    // 000000003810: 807C7CFF 00000440
	buffer_load_dword v8, s[8:11], s59 offen lds               // 000000003818: E0511000 3B020008
	s_add_u32 m0, 0x440, m0                                    // 000000003820: 807C7CFF 00000440
	buffer_load_dword v9, s[8:11], s59 offen lds               // 000000003828: E0511000 3B020009
	s_add_u32 m0, 0x440, m0                                    // 000000003830: 807C7CFF 00000440
	buffer_load_dword v10, s[8:11], s59 offen lds              // 000000003838: E0511000 3B02000A
	s_add_u32 m0, 0x440, m0                                    // 000000003840: 807C7CFF 00000440
	buffer_load_dword v11, s[8:11], s59 offen lds              // 000000003848: E0511000 3B02000B
	s_add_u32 m0, 0x440, m0                                    // 000000003850: 807C7CFF 00000440
	buffer_load_dword v12, s[8:11], s59 offen lds              // 000000003858: E0511000 3B02000C
	s_add_u32 m0, 0x440, m0                                    // 000000003860: 807C7CFF 00000440
	buffer_load_dword v13, s[8:11], s59 offen lds              // 000000003868: E0511000 3B02000D
	s_add_u32 m0, 0x440, m0                                    // 000000003870: 807C7CFF 00000440
	buffer_load_dword v14, s[8:11], s59 offen lds              // 000000003878: E0511000 3B02000E
	s_add_u32 m0, 0x440, m0                                    // 000000003880: 807C7CFF 00000440
	buffer_load_dword v15, s[8:11], s59 offen lds              // 000000003888: E0511000 3B02000F
	s_mov_b32 s40, 0x3300                                      // 000000003890: BEA800FF 00003300
	s_add_u32 s58, s40, s55                                    // 000000003898: 803A3728
	s_mul_i32 s59, 32, s62                                     // 00000000389C: 923B3EA0
	s_nop 0                                                    // 0000000038A0: BF800000
	s_mov_b32 m0, s58                                          // 0000000038A4: BEFC003A
	buffer_load_dword v4, s[8:11], s59 offen lds               // 0000000038A8: E0511000 3B020004
	s_add_u32 m0, 0x440, m0                                    // 0000000038B0: 807C7CFF 00000440
	buffer_load_dword v5, s[8:11], s59 offen lds               // 0000000038B8: E0511000 3B020005
	s_add_u32 m0, 0x440, m0                                    // 0000000038C0: 807C7CFF 00000440
	buffer_load_dword v6, s[8:11], s59 offen lds               // 0000000038C8: E0511000 3B020006
	s_add_u32 m0, 0x440, m0                                    // 0000000038D0: 807C7CFF 00000440
	buffer_load_dword v7, s[8:11], s59 offen lds               // 0000000038D8: E0511000 3B020007
	s_add_u32 m0, 0x440, m0                                    // 0000000038E0: 807C7CFF 00000440
	buffer_load_dword v8, s[8:11], s59 offen lds               // 0000000038E8: E0511000 3B020008
	s_add_u32 m0, 0x440, m0                                    // 0000000038F0: 807C7CFF 00000440
	buffer_load_dword v9, s[8:11], s59 offen lds               // 0000000038F8: E0511000 3B020009
	s_add_u32 m0, 0x440, m0                                    // 000000003900: 807C7CFF 00000440
	buffer_load_dword v10, s[8:11], s59 offen lds              // 000000003908: E0511000 3B02000A
	s_add_u32 m0, 0x440, m0                                    // 000000003910: 807C7CFF 00000440
	buffer_load_dword v11, s[8:11], s59 offen lds              // 000000003918: E0511000 3B02000B
	s_add_u32 m0, 0x440, m0                                    // 000000003920: 807C7CFF 00000440
	buffer_load_dword v12, s[8:11], s59 offen lds              // 000000003928: E0511000 3B02000C
	s_add_u32 m0, 0x440, m0                                    // 000000003930: 807C7CFF 00000440
	buffer_load_dword v13, s[8:11], s59 offen lds              // 000000003938: E0511000 3B02000D
	s_add_u32 m0, 0x440, m0                                    // 000000003940: 807C7CFF 00000440
	buffer_load_dword v14, s[8:11], s59 offen lds              // 000000003948: E0511000 3B02000E
	s_add_u32 m0, 0x440, m0                                    // 000000003950: 807C7CFF 00000440
	buffer_load_dword v15, s[8:11], s59 offen lds              // 000000003958: E0511000 3B02000F
	s_mov_b32 s40, 0x6600                                      // 000000003960: BEA800FF 00006600
	s_add_u32 s58, s40, s55                                    // 000000003968: 803A3728
	s_mul_i32 s59, 64, s62                                     // 00000000396C: 923B3EC0
	s_nop 0                                                    // 000000003970: BF800000
	s_mov_b32 m0, s58                                          // 000000003974: BEFC003A
	buffer_load_dword v4, s[8:11], s59 offen lds               // 000000003978: E0511000 3B020004
	s_add_u32 m0, 0x440, m0                                    // 000000003980: 807C7CFF 00000440
	buffer_load_dword v5, s[8:11], s59 offen lds               // 000000003988: E0511000 3B020005
	s_add_u32 m0, 0x440, m0                                    // 000000003990: 807C7CFF 00000440
	buffer_load_dword v6, s[8:11], s59 offen lds               // 000000003998: E0511000 3B020006
	s_add_u32 m0, 0x440, m0                                    // 0000000039A0: 807C7CFF 00000440
	buffer_load_dword v7, s[8:11], s59 offen lds               // 0000000039A8: E0511000 3B020007
	s_add_u32 m0, 0x440, m0                                    // 0000000039B0: 807C7CFF 00000440
	buffer_load_dword v8, s[8:11], s59 offen lds               // 0000000039B8: E0511000 3B020008
	s_add_u32 m0, 0x440, m0                                    // 0000000039C0: 807C7CFF 00000440
	buffer_load_dword v9, s[8:11], s59 offen lds               // 0000000039C8: E0511000 3B020009
	s_add_u32 m0, 0x440, m0                                    // 0000000039D0: 807C7CFF 00000440
	buffer_load_dword v10, s[8:11], s59 offen lds              // 0000000039D8: E0511000 3B02000A
	s_add_u32 m0, 0x440, m0                                    // 0000000039E0: 807C7CFF 00000440
	buffer_load_dword v11, s[8:11], s59 offen lds              // 0000000039E8: E0511000 3B02000B
	s_add_u32 m0, 0x440, m0                                    // 0000000039F0: 807C7CFF 00000440
	buffer_load_dword v12, s[8:11], s59 offen lds              // 0000000039F8: E0511000 3B02000C
	s_add_u32 m0, 0x440, m0                                    // 000000003A00: 807C7CFF 00000440
	buffer_load_dword v13, s[8:11], s59 offen lds              // 000000003A08: E0511000 3B02000D
	s_add_u32 m0, 0x440, m0                                    // 000000003A10: 807C7CFF 00000440
	buffer_load_dword v14, s[8:11], s59 offen lds              // 000000003A18: E0511000 3B02000E
	s_add_u32 m0, 0x440, m0                                    // 000000003A20: 807C7CFF 00000440
	buffer_load_dword v15, s[8:11], s59 offen lds              // 000000003A28: E0511000 3B02000F
	s_mov_b32 s40, 0x9900                                      // 000000003A30: BEA800FF 00009900
	s_add_u32 s58, s40, s55                                    // 000000003A38: 803A3728
	s_mul_i32 s59, 0x60, s62                                   // 000000003A3C: 923B3EFF 00000060
	s_mov_b32 m0, s58                                          // 000000003A44: BEFC003A
	buffer_load_dword v4, s[8:11], s59 offen lds               // 000000003A48: E0511000 3B020004
	s_add_u32 m0, 0x440, m0                                    // 000000003A50: 807C7CFF 00000440
	buffer_load_dword v5, s[8:11], s59 offen lds               // 000000003A58: E0511000 3B020005
	s_add_u32 m0, 0x440, m0                                    // 000000003A60: 807C7CFF 00000440
	buffer_load_dword v6, s[8:11], s59 offen lds               // 000000003A68: E0511000 3B020006
	s_add_u32 m0, 0x440, m0                                    // 000000003A70: 807C7CFF 00000440
	buffer_load_dword v7, s[8:11], s59 offen lds               // 000000003A78: E0511000 3B020007
	s_add_u32 m0, 0x440, m0                                    // 000000003A80: 807C7CFF 00000440
	buffer_load_dword v8, s[8:11], s59 offen lds               // 000000003A88: E0511000 3B020008
	s_add_u32 m0, 0x440, m0                                    // 000000003A90: 807C7CFF 00000440
	buffer_load_dword v9, s[8:11], s59 offen lds               // 000000003A98: E0511000 3B020009
	s_add_u32 m0, 0x440, m0                                    // 000000003AA0: 807C7CFF 00000440
	buffer_load_dword v10, s[8:11], s59 offen lds              // 000000003AA8: E0511000 3B02000A
	s_add_u32 m0, 0x440, m0                                    // 000000003AB0: 807C7CFF 00000440
	buffer_load_dword v11, s[8:11], s59 offen lds              // 000000003AB8: E0511000 3B02000B
	s_add_u32 m0, 0x440, m0                                    // 000000003AC0: 807C7CFF 00000440
	buffer_load_dword v12, s[8:11], s59 offen lds              // 000000003AC8: E0511000 3B02000C
	s_add_u32 m0, 0x440, m0                                    // 000000003AD0: 807C7CFF 00000440
	buffer_load_dword v13, s[8:11], s59 offen lds              // 000000003AD8: E0511000 3B02000D
	s_add_u32 m0, 0x440, m0                                    // 000000003AE0: 807C7CFF 00000440
	buffer_load_dword v14, s[8:11], s59 offen lds              // 000000003AE8: E0511000 3B02000E
	s_add_u32 m0, 0x440, m0                                    // 000000003AF0: 807C7CFF 00000440
	buffer_load_dword v15, s[8:11], s59 offen lds              // 000000003AF8: E0511000 3B02000F
	v_mov_b32_e32 v100, 0                                      // 000000003B00: 7EC80280
	v_mov_b32_e32 v101, 0                                      // 000000003B04: 7ECA0280
	v_mov_b32_e32 v102, 0                                      // 000000003B08: 7ECC0280
	v_mov_b32_e32 v103, 0                                      // 000000003B0C: 7ECE0280
	v_mov_b32_e32 v104, 0                                      // 000000003B10: 7ED00280
	v_mov_b32_e32 v105, 0                                      // 000000003B14: 7ED20280
	v_mov_b32_e32 v106, 0                                      // 000000003B18: 7ED40280
	v_mov_b32_e32 v107, 0                                      // 000000003B1C: 7ED60280
	v_mov_b32_e32 v108, 0                                      // 000000003B20: 7ED80280
	v_mov_b32_e32 v109, 0                                      // 000000003B24: 7EDA0280
	v_mov_b32_e32 v110, 0                                      // 000000003B28: 7EDC0280
	v_mov_b32_e32 v111, 0                                      // 000000003B2C: 7EDE0280
	v_mov_b32_e32 v112, 0                                      // 000000003B30: 7EE00280
	v_mov_b32_e32 v113, 0                                      // 000000003B34: 7EE20280
	v_mov_b32_e32 v114, 0                                      // 000000003B38: 7EE40280
	v_mov_b32_e32 v115, 0                                      // 000000003B3C: 7EE60280
	v_mov_b32_e32 v116, 0                                      // 000000003B40: 7EE80280
	v_mov_b32_e32 v117, 0                                      // 000000003B44: 7EEA0280
	v_mov_b32_e32 v118, 0                                      // 000000003B48: 7EEC0280
	v_mov_b32_e32 v119, 0                                      // 000000003B4C: 7EEE0280
	v_mov_b32_e32 v120, 0                                      // 000000003B50: 7EF00280
	v_mov_b32_e32 v121, 0                                      // 000000003B54: 7EF20280
	v_mov_b32_e32 v122, 0                                      // 000000003B58: 7EF40280
	v_mov_b32_e32 v123, 0                                      // 000000003B5C: 7EF60280
	v_mov_b32_e32 v124, 0                                      // 000000003B60: 7EF80280
	v_mov_b32_e32 v125, 0                                      // 000000003B64: 7EFA0280
	v_mov_b32_e32 v126, 0                                      // 000000003B68: 7EFC0280
	v_mov_b32_e32 v127, 0                                      // 000000003B6C: 7EFE0280
	v_mov_b32_e32 v128, 0                                      // 000000003B70: 7F000280
	v_mov_b32_e32 v129, 0                                      // 000000003B74: 7F020280
	v_mov_b32_e32 v130, 0                                      // 000000003B78: 7F040280
	v_mov_b32_e32 v131, 0                                      // 000000003B7C: 7F060280
	v_mov_b32_e32 v132, 0                                      // 000000003B80: 7F080280
	v_mov_b32_e32 v133, 0                                      // 000000003B84: 7F0A0280
	v_mov_b32_e32 v134, 0                                      // 000000003B88: 7F0C0280
	v_mov_b32_e32 v135, 0                                      // 000000003B8C: 7F0E0280
	v_mov_b32_e32 v136, 0                                      // 000000003B90: 7F100280
	v_mov_b32_e32 v137, 0                                      // 000000003B94: 7F120280
	v_mov_b32_e32 v138, 0                                      // 000000003B98: 7F140280
	v_mov_b32_e32 v139, 0                                      // 000000003B9C: 7F160280
	v_mov_b32_e32 v140, 0                                      // 000000003BA0: 7F180280
	v_mov_b32_e32 v141, 0                                      // 000000003BA4: 7F1A0280
	v_mov_b32_e32 v142, 0                                      // 000000003BA8: 7F1C0280
	v_mov_b32_e32 v143, 0                                      // 000000003BAC: 7F1E0280
	v_mov_b32_e32 v144, 0                                      // 000000003BB0: 7F200280
	v_mov_b32_e32 v145, 0                                      // 000000003BB4: 7F220280
	v_mov_b32_e32 v146, 0                                      // 000000003BB8: 7F240280
	v_mov_b32_e32 v147, 0                                      // 000000003BBC: 7F260280
	v_mov_b32_e32 v148, 0                                      // 000000003BC0: 7F280280
	v_mov_b32_e32 v149, 0                                      // 000000003BC4: 7F2A0280
	v_mov_b32_e32 v150, 0                                      // 000000003BC8: 7F2C0280
	v_mov_b32_e32 v151, 0                                      // 000000003BCC: 7F2E0280
	v_mov_b32_e32 v152, 0                                      // 000000003BD0: 7F300280
	v_mov_b32_e32 v153, 0                                      // 000000003BD4: 7F320280
	v_mov_b32_e32 v154, 0                                      // 000000003BD8: 7F340280
	v_mov_b32_e32 v155, 0                                      // 000000003BDC: 7F360280
	v_mov_b32_e32 v156, 0                                      // 000000003BE0: 7F380280
	v_mov_b32_e32 v157, 0                                      // 000000003BE4: 7F3A0280
	v_mov_b32_e32 v158, 0                                      // 000000003BE8: 7F3C0280
	v_mov_b32_e32 v159, 0                                      // 000000003BEC: 7F3E0280
	v_mov_b32_e32 v160, 0                                      // 000000003BF0: 7F400280
	v_mov_b32_e32 v161, 0                                      // 000000003BF4: 7F420280
	v_mov_b32_e32 v162, 0                                      // 000000003BF8: 7F440280
	v_mov_b32_e32 v163, 0                                      // 000000003BFC: 7F460280
	s_cmp_le_u32 s7, 0                                         // 000000003C00: BF0B8007
	s_cbranch_scc1 label_0C58                                  // 000000003C04: BF850A16
	v_lshrrev_b32_e32 v40, 5, v0                               // 000000003C08: 20500085
	v_mul_i32_i24_e32 v41, 4, v40                              // 000000003C0C: 0C525084
	v_and_b32_e32 v40, 31, v0                                  // 000000003C10: 2650009F
	v_lshrrev_b32_e32 v42, 4, v40                              // 000000003C14: 20545084
	v_mul_i32_i24_e32 v42, 32, v42                             // 000000003C18: 0C5454A0
	v_and_b32_e32 v43, 15, v40                                 // 000000003C1C: 2656508F
	v_mul_i32_i24_e32 v2, 0x44, v43                            // 000000003C20: 0C0456FF 00000044
	v_add_u32_e32 v2, v2, v42                                  // 000000003C28: 68045502
	v_add_u32_e32 v2, v2, v41                                  // 000000003C2C: 68045302
	v_lshlrev_b32_e32 v2, 2, v2                                // 000000003C30: 24040482
	s_and_b32 s40, 3, s5                                       // 000000003C34: 86280583
	s_mul_i32 s40, s40, 0x3300                                 // 000000003C38: 9228FF28 00003300
	v_add_u32_e32 v2, s40, v2                                  // 000000003C40: 68040428
	v_lshrrev_b32_e32 v40, 5, v0                               // 000000003C44: 20500085
	v_mul_i32_i24_e32 v41, 4, v40                              // 000000003C48: 0C525084
	v_and_b32_e32 v40, 31, v0                                  // 000000003C4C: 2650009F
	v_lshrrev_b32_e32 v42, 4, v40                              // 000000003C50: 20545084
	v_mul_i32_i24_e32 v42, 32, v42                             // 000000003C54: 0C5454A0
	v_and_b32_e32 v43, 15, v40                                 // 000000003C58: 2656508F
	v_mul_i32_i24_e32 v36, 0x44, v43                           // 000000003C5C: 0C4856FF 00000044
	v_add_u32_e32 v36, v36, v42                                // 000000003C64: 68485524
	v_add_u32_e32 v36, v36, v41                                // 000000003C68: 68485324
	v_lshlrev_b32_e32 v36, 2, v36                              // 000000003C6C: 24484882
	v_lshrrev_b32_e32 v40, 5, v0                               // 000000003C70: 20500085
	v_mul_i32_i24_e32 v41, 0x100, v40                          // 000000003C74: 0C5250FF 00000100
	v_and_b32_e32 v40, 30, v0                                  // 000000003C7C: 2650009E
	v_lshlrev_b32_e32 v40, 1, v40                              // 000000003C80: 24505081
	v_add_u32_e32 v37, v41, v40                                // 000000003C84: 684A5129
	v_and_b32_e32 v40, 1, v0                                   // 000000003C88: 26500081
	v_mul_i32_i24_e32 v40, 0x410, v40                          // 000000003C8C: 0C5050FF 00000410
	v_add_u32_e32 v37, v40, v37                                // 000000003C94: 684A4B28
	v_lshlrev_b32_e32 v37, 2, v37                              // 000000003C98: 244A4A82
	v_lshlrev_b32_e32 v38, 2, v0                               // 000000003C9C: 244C0082
	s_mul_i32 s40, s5, 0x100                                   // 000000003CA0: 9228FF05 00000100
	v_add_u32_e32 v38, s40, v38                                // 000000003CA8: 684C4C28
	v_lshlrev_b32_e32 v38, 2, v38                              // 000000003CAC: 244C4C82
	v_lshrrev_b32_e32 v40, 5, v0                               // 000000003CB0: 20500085
	v_lshlrev_b32_e32 v40, 4, v40                              // 000000003CB4: 24505084
	v_mul_i32_i24_e64 v40, v40, s61                            // 000000003CB8: D1060028 00007B28
	v_and_b32_e32 v16, 31, v0                                  // 000000003CC0: 2620009F
	v_lshlrev_b32_e32 v16, 2, v16                              // 000000003CC4: 24202082
	v_add_u32_e32 v16, v40, v16                                // 000000003CC8: 68202128
	s_mul_i32 s41, s5, s61                                     // 000000003CCC: 92293D05
	v_add_u32_e32 v16, s41, v16                                // 000000003CD0: 68202029
	s_mul_i32 s40, 4, s61                                      // 000000003CD4: 92283D84
	v_add_u32_e32 v17, s40, v16                                // 000000003CD8: 68222028
	v_add_u32_e32 v18, s40, v17                                // 000000003CDC: 68242228
	v_add_u32_e32 v19, s40, v18                                // 000000003CE0: 68262428
	v_add_u32_e32 v20, 0x80, v16                               // 000000003CE4: 682820FF 00000080
	v_add_u32_e32 v21, 0x80, v17                               // 000000003CEC: 682A22FF 00000080
	v_add_u32_e32 v22, 0x80, v18                               // 000000003CF4: 682C24FF 00000080
	v_add_u32_e32 v23, 0x80, v19                               // 000000003CFC: 682E26FF 00000080
	v_add_u32_e32 v24, 0x80, v20                               // 000000003D04: 683028FF 00000080
	v_add_u32_e32 v25, 0x80, v21                               // 000000003D0C: 68322AFF 00000080
	v_add_u32_e32 v26, 0x80, v22                               // 000000003D14: 68342CFF 00000080
	v_add_u32_e32 v27, 0x80, v23                               // 000000003D1C: 68362EFF 00000080
	s_mul_i32 s40, s5, 0x110                                   // 000000003D24: 9228FF05 00000110
	s_add_u32 s68, 0, s40                                      // 000000003D2C: 80442880
	s_add_u32 s69, 0x3300, s68                                 // 000000003D30: 804544FF 00003300
	v_lshlrev_b32_e32 v28, 2, v0                               // 000000003D38: 24380082
	s_and_b32 s40, 1, s5                                       // 000000003D3C: 86280581
	s_lshl_b32 s40, s40, 2                                     // 000000003D40: 8E288228
	s_lshr_b32 s41, s5, 1                                      // 000000003D44: 8F298105
	s_lshl_b32 s41, s41, 4                                     // 000000003D48: 8E298429
	s_add_i32 s40, s40, s41                                    // 000000003D4C: 81282928
	s_mul_i32 s40, s40, s80                                    // 000000003D50: 92285028
	v_add_u32_e32 v28, s40, v28                                // 000000003D54: 68383828
	v_add_u32_e32 v29, s80, v28                                // 000000003D58: 683A3850
	v_add_u32_e32 v30, s80, v29                                // 000000003D5C: 683C3A50
	v_add_u32_e32 v31, s80, v30                                // 000000003D60: 683E3C50
	s_mul_i32 s40, s80, 8                                      // 000000003D64: 92288850
	v_add_u32_e32 v32, s40, v28                                // 000000003D68: 68403828
	v_add_u32_e32 v33, s40, v29                                // 000000003D6C: 68423A28
	v_add_u32_e32 v34, s40, v30                                // 000000003D70: 68443C28
	v_add_u32_e32 v35, s40, v31                                // 000000003D74: 68463E28
	s_waitcnt vmcnt(24)                                        // 000000003D78: BF8C4F78
	s_barrier                                                  // 000000003D7C: BF8A0000
	s_cmp_lt_i32 s5, 2                                         // 000000003D80: BF048205
	s_cbranch_scc0 label_02BA                                  // 000000003D84: BF840018
	ds_read_b128 a[0:3], v2                                    // 000000003D88: DBFE0000 00000002
	ds_read_b128 a[4:7], v2 offset:32                          // 000000003D90: DBFE0020 04000002
	ds_read_b128 a[8:11], v2 offset:64                         // 000000003D98: DBFE0040 08000002
	ds_read_b128 a[12:15], v2 offset:96                        // 000000003DA0: DBFE0060 0C000002
	ds_read_b128 a[16:19], v2 offset:4352                      // 000000003DA8: DBFE1100 10000002
	ds_read_b128 a[20:23], v2 offset:4384                      // 000000003DB0: DBFE1120 14000002
	ds_read_b128 a[24:27], v2 offset:4416                      // 000000003DB8: DBFE1140 18000002
	ds_read_b128 a[28:31], v2 offset:4448                      // 000000003DC0: DBFE1160 1C000002
	ds_read_b128 a[32:35], v2 offset:8704                      // 000000003DC8: DBFE2200 20000002
	ds_read_b128 a[36:39], v2 offset:8736                      // 000000003DD0: DBFE2220 24000002
	ds_read_b128 a[40:43], v2 offset:8768                      // 000000003DD8: DBFE2240 28000002
	ds_read_b128 a[44:47], v2 offset:8800                      // 000000003DE0: DBFE2260 2C000002

0000000000003de8 <label_02BA>:
	s_waitcnt lgkmcnt(0)                                       // 000000003DE8: BF8CC07F
	s_barrier                                                  // 000000003DEC: BF8A0000
	s_nop 0                                                    // 000000003DF0: BF800000
	s_mov_b32 m0, s68                                          // 000000003DF4: BEFC0044
	buffer_load_dword v16, s[12:15], s60 offen lds             // 000000003DF8: E0511000 3C030010
	s_add_u32 m0, 0x440, m0                                    // 000000003E00: 807C7CFF 00000440
	buffer_load_dword v17, s[12:15], s60 offen lds             // 000000003E08: E0511000 3C030011
	s_add_u32 m0, 0x440, m0                                    // 000000003E10: 807C7CFF 00000440
	buffer_load_dword v18, s[12:15], s60 offen lds             // 000000003E18: E0511000 3C030012
	s_add_u32 m0, 0x440, m0                                    // 000000003E20: 807C7CFF 00000440
	buffer_load_dword v19, s[12:15], s60 offen lds             // 000000003E28: E0511000 3C030013
	s_add_u32 m0, 0x440, m0                                    // 000000003E30: 807C7CFF 00000440
	buffer_load_dword v20, s[12:15], s60 offen lds             // 000000003E38: E0511000 3C030014
	s_add_u32 m0, 0x440, m0                                    // 000000003E40: 807C7CFF 00000440
	buffer_load_dword v21, s[12:15], s60 offen lds             // 000000003E48: E0511000 3C030015
	s_add_u32 m0, 0x440, m0                                    // 000000003E50: 807C7CFF 00000440
	buffer_load_dword v22, s[12:15], s60 offen lds             // 000000003E58: E0511000 3C030016
	s_add_u32 m0, 0x440, m0                                    // 000000003E60: 807C7CFF 00000440
	buffer_load_dword v23, s[12:15], s60 offen lds             // 000000003E68: E0511000 3C030017
	s_add_u32 m0, 0x440, m0                                    // 000000003E70: 807C7CFF 00000440
	buffer_load_dword v24, s[12:15], s60 offen lds             // 000000003E78: E0511000 3C030018
	s_add_u32 m0, 0x440, m0                                    // 000000003E80: 807C7CFF 00000440
	buffer_load_dword v25, s[12:15], s60 offen lds             // 000000003E88: E0511000 3C030019
	s_add_u32 m0, 0x440, m0                                    // 000000003E90: 807C7CFF 00000440
	buffer_load_dword v26, s[12:15], s60 offen lds             // 000000003E98: E0511000 3C03001A
	s_add_u32 m0, 0x440, m0                                    // 000000003EA0: 807C7CFF 00000440
	buffer_load_dword v27, s[12:15], s60 offen lds             // 000000003EA8: E0511000 3C03001B
	s_add_i32 s60, s43, s60                                    // 000000003EB0: 813C3C2B
	s_mov_b32 m0, s69                                          // 000000003EB4: BEFC0045
	buffer_load_dword v16, s[12:15], s60 offen lds             // 000000003EB8: E0511000 3C030010
	s_add_u32 m0, 0x440, m0                                    // 000000003EC0: 807C7CFF 00000440
	buffer_load_dword v17, s[12:15], s60 offen lds             // 000000003EC8: E0511000 3C030011
	s_add_u32 m0, 0x440, m0                                    // 000000003ED0: 807C7CFF 00000440
	buffer_load_dword v18, s[12:15], s60 offen lds             // 000000003ED8: E0511000 3C030012
	s_add_u32 m0, 0x440, m0                                    // 000000003EE0: 807C7CFF 00000440
	buffer_load_dword v19, s[12:15], s60 offen lds             // 000000003EE8: E0511000 3C030013
	s_add_u32 m0, 0x440, m0                                    // 000000003EF0: 807C7CFF 00000440
	buffer_load_dword v20, s[12:15], s60 offen lds             // 000000003EF8: E0511000 3C030014
	s_add_u32 m0, 0x440, m0                                    // 000000003F00: 807C7CFF 00000440
	buffer_load_dword v21, s[12:15], s60 offen lds             // 000000003F08: E0511000 3C030015
	s_add_u32 m0, 0x440, m0                                    // 000000003F10: 807C7CFF 00000440
	buffer_load_dword v22, s[12:15], s60 offen lds             // 000000003F18: E0511000 3C030016
	s_add_u32 m0, 0x440, m0                                    // 000000003F20: 807C7CFF 00000440
	buffer_load_dword v23, s[12:15], s60 offen lds             // 000000003F28: E0511000 3C030017
	s_add_u32 m0, 0x440, m0                                    // 000000003F30: 807C7CFF 00000440
	buffer_load_dword v24, s[12:15], s60 offen lds             // 000000003F38: E0511000 3C030018
	s_add_u32 m0, 0x440, m0                                    // 000000003F40: 807C7CFF 00000440
	buffer_load_dword v25, s[12:15], s60 offen lds             // 000000003F48: E0511000 3C030019
	s_add_u32 m0, 0x440, m0                                    // 000000003F50: 807C7CFF 00000440
	buffer_load_dword v26, s[12:15], s60 offen lds             // 000000003F58: E0511000 3C03001A
	s_add_u32 m0, 0x440, m0                                    // 000000003F60: 807C7CFF 00000440
	buffer_load_dword v27, s[12:15], s60 offen lds             // 000000003F68: E0511000 3C03001B
	s_add_i32 s60, s43, s60                                    // 000000003F70: 813C3C2B
	s_waitcnt vmcnt(24)                                        // 000000003F74: BF8C4F78
	s_barrier                                                  // 000000003F78: BF8A0000
	s_cmp_lt_i32 s5, 2                                         // 000000003F7C: BF048205
	s_cbranch_scc1 label_033A                                  // 000000003F80: BF850019
	s_nop 0                                                    // 000000003F84: BF800000
	ds_read_b128 a[0:3], v2                                    // 000000003F88: DBFE0000 00000002
	ds_read_b128 a[4:7], v2 offset:32                          // 000000003F90: DBFE0020 04000002
	ds_read_b128 a[8:11], v2 offset:64                         // 000000003F98: DBFE0040 08000002
	ds_read_b128 a[12:15], v2 offset:96                        // 000000003FA0: DBFE0060 0C000002
	ds_read_b128 a[16:19], v2 offset:4352                      // 000000003FA8: DBFE1100 10000002
	ds_read_b128 a[20:23], v2 offset:4384                      // 000000003FB0: DBFE1120 14000002
	ds_read_b128 a[24:27], v2 offset:4416                      // 000000003FB8: DBFE1140 18000002
	ds_read_b128 a[28:31], v2 offset:4448                      // 000000003FC0: DBFE1160 1C000002
	ds_read_b128 a[32:35], v2 offset:8704                      // 000000003FC8: DBFE2200 20000002
	ds_read_b128 a[36:39], v2 offset:8736                      // 000000003FD0: DBFE2220 24000002
	ds_read_b128 a[40:43], v2 offset:8768                      // 000000003FD8: DBFE2240 28000002
	ds_read_b128 a[44:47], v2 offset:8800                      // 000000003FE0: DBFE2260 2C000002

0000000000003fe8 <label_033A>:
	s_waitcnt lgkmcnt(0)                                       // 000000003FE8: BF8CC07F
	s_barrier                                                  // 000000003FEC: BF8A0000
	buffer_load_dword v164, v28, s[16:19], s35 offen           // 000000003FF0: E0501000 2304A41C
	buffer_load_dword v165, v29, s[16:19], s35 offen           // 000000003FF8: E0501000 2304A51D
	buffer_load_dword v166, v30, s[16:19], s35 offen           // 000000004000: E0501000 2304A61E
	buffer_load_dword v167, v31, s[16:19], s35 offen           // 000000004008: E0501000 2304A71F
	buffer_load_dword v168, v32, s[16:19], s35 offen           // 000000004010: E0501000 2304A820
	buffer_load_dword v169, v33, s[16:19], s35 offen           // 000000004018: E0501000 2304A921
	buffer_load_dword v170, v34, s[16:19], s35 offen           // 000000004020: E0501000 2304AA22
	buffer_load_dword v171, v35, s[16:19], s35 offen           // 000000004028: E0501000 2304AB23
	s_add_i32 s35, s44, s35                                    // 000000004030: 8123232C
	s_waitcnt vmcnt(20)                                        // 000000004034: BF8C4F74
	s_barrier                                                  // 000000004038: BF8A0000
	s_nop 0                                                    // 00000000403C: BF800000
	ds_read_b128 a[48:51], v36                                 // 000000004040: DBFE0000 30000024
	ds_read_b128 a[52:55], v36 offset:32                       // 000000004048: DBFE0020 34000024
	ds_read_b128 a[56:59], v36 offset:64                       // 000000004050: DBFE0040 38000024
	ds_read_b128 a[60:63], v36 offset:96                       // 000000004058: DBFE0060 3C000024
	ds_read_b128 a[64:67], v36 offset:4352                     // 000000004060: DBFE1100 40000024
	ds_read_b128 a[68:71], v36 offset:4384                     // 000000004068: DBFE1120 44000024
	ds_read_b128 a[72:75], v36 offset:4416                     // 000000004070: DBFE1140 48000024
	ds_read_b128 a[76:79], v36 offset:4448                     // 000000004078: DBFE1160 4C000024
	ds_read_b128 a[80:83], v36 offset:8704                     // 000000004080: DBFE2200 50000024
	ds_read_b128 a[84:87], v36 offset:8736                     // 000000004088: DBFE2220 54000024
	ds_read_b128 a[88:91], v36 offset:8768                     // 000000004090: DBFE2240 58000024
	ds_read_b128 a[92:95], v36 offset:8800                     // 000000004098: DBFE2260 5C000024
	buffer_load_dword v172, v28, s[16:19], s35 offen           // 0000000040A0: E0501000 2304AC1C
	buffer_load_dword v173, v29, s[16:19], s35 offen           // 0000000040A8: E0501000 2304AD1D
	buffer_load_dword v174, v30, s[16:19], s35 offen           // 0000000040B0: E0501000 2304AE1E
	buffer_load_dword v175, v31, s[16:19], s35 offen           // 0000000040B8: E0501000 2304AF1F
	buffer_load_dword v176, v32, s[16:19], s35 offen           // 0000000040C0: E0501000 2304B020
	buffer_load_dword v177, v33, s[16:19], s35 offen           // 0000000040C8: E0501000 2304B121
	buffer_load_dword v178, v34, s[16:19], s35 offen           // 0000000040D0: E0501000 2304B222
	buffer_load_dword v179, v35, s[16:19], s35 offen           // 0000000040D8: E0501000 2304B323
	s_add_i32 s35, s44, s35                                    // 0000000040E0: 8123232C
	s_waitcnt vmcnt(8) lgkmcnt(0)                              // 0000000040E4: BF8C0078
	s_barrier                                                  // 0000000040E8: BF8A0000
	v_mfma_f32_32x32x8_bf16 v[68:83], a[48:49], a[0:1], 0      // 0000000040EC: D3E00044 1A020130
	s_mov_b32 m0, s68                                          // 0000000040F4: BEFC0044
	buffer_load_dword v16, s[12:15], s60 offen lds             // 0000000040F8: E0511000 3C030010
	v_perm_b32 v180, v165, v164, s50                           // 000000004100: D1ED00B4 00CB49A5
	v_perm_b32 v184, v165, v164, s49                           // 000000004108: D1ED00B8 00C749A5
	v_perm_b32 v181, v167, v166, s50                           // 000000004110: D1ED00B5 00CB4DA7
	v_perm_b32 v185, v167, v166, s49                           // 000000004118: D1ED00B9 00C74DA7
	v_mfma_f32_32x32x8_bf16 v[68:83], a[50:51], a[2:3], v[68:83]// 000000004120: D3E00044 1D120532
	v_perm_b32 v182, v169, v168, s50                           // 000000004128: D1ED00B6 00CB51A9
	v_perm_b32 v186, v169, v168, s49                           // 000000004130: D1ED00BA 00C751A9
	v_perm_b32 v183, v171, v170, s50                           // 000000004138: D1ED00B7 00CB55AB
	v_perm_b32 v187, v171, v170, s49                           // 000000004140: D1ED00BB 00C755AB
	v_mfma_f32_32x32x8_bf16 v[68:83], a[52:53], a[4:5], v[68:83]// 000000004148: D3E00044 1D120934
	s_add_u32 m0, 0x440, m0                                    // 000000004150: 807C7CFF 00000440
	buffer_load_dword v17, s[12:15], s60 offen lds             // 000000004158: E0511000 3C030011
	v_mfma_f32_32x32x8_bf16 v[68:83], a[54:55], a[6:7], v[68:83]// 000000004160: D3E00044 1D120D36
	ds_write_b128 v38, v[180:183] offset:26112                 // 000000004168: D9BE6600 0000B426
	ds_write_b128 v38, v[184:187] offset:30272                 // 000000004170: D9BE7640 0000B826
	v_mfma_f32_32x32x8_bf16 v[68:83], a[56:57], a[8:9], v[68:83]// 000000004178: D3E00044 1D121138
	s_add_u32 m0, 0x440, m0                                    // 000000004180: 807C7CFF 00000440
	buffer_load_dword v18, s[12:15], s60 offen lds             // 000000004188: E0511000 3C030012
	v_mfma_f32_32x32x8_bf16 v[68:83], a[58:59], a[10:11], v[68:83]// 000000004190: D3E00044 1D12153A
	ds_read_b128 a[96:99], v36 offset:13056                    // 000000004198: DBFE3300 60000024
	ds_read_b128 a[100:103], v36 offset:13088                  // 0000000041A0: DBFE3320 64000024
	v_mfma_f32_32x32x8_bf16 v[68:83], a[60:61], a[12:13], v[68:83]// 0000000041A8: D3E00044 1D12193C
	s_add_u32 m0, 0x440, m0                                    // 0000000041B0: 807C7CFF 00000440
	buffer_load_dword v19, s[12:15], s60 offen lds             // 0000000041B8: E0511000 3C030013
	v_mfma_f32_32x32x8_bf16 v[68:83], a[62:63], a[14:15], v[68:83]// 0000000041C0: D3E00044 1D121D3E
	ds_read_b128 a[104:107], v36 offset:13120                  // 0000000041C8: DBFE3340 68000024
	ds_read_b128 a[108:111], v36 offset:13152                  // 0000000041D0: DBFE3360 6C000024
	v_mfma_f32_32x32x8_bf16 v[68:83], a[64:65], a[16:17], v[68:83]// 0000000041D8: D3E00044 1D122140
	s_add_u32 m0, 0x440, m0                                    // 0000000041E0: 807C7CFF 00000440
	buffer_load_dword v20, s[12:15], s60 offen lds             // 0000000041E8: E0511000 3C030014
	v_mfma_f32_32x32x8_bf16 v[68:83], a[66:67], a[18:19], v[68:83]// 0000000041F0: D3E00044 1D122542
	ds_read_b128 a[112:115], v36 offset:17408                  // 0000000041F8: DBFE4400 70000024
	ds_read_b128 a[116:119], v36 offset:17440                  // 000000004200: DBFE4420 74000024
	v_mfma_f32_32x32x8_bf16 v[68:83], a[68:69], a[20:21], v[68:83]// 000000004208: D3E00044 1D122944
	s_add_u32 m0, 0x440, m0                                    // 000000004210: 807C7CFF 00000440
	buffer_load_dword v21, s[12:15], s60 offen lds             // 000000004218: E0511000 3C030015
	v_mfma_f32_32x32x8_bf16 v[68:83], a[70:71], a[22:23], v[68:83]// 000000004220: D3E00044 1D122D46
	ds_read_b128 a[120:123], v36 offset:17472                  // 000000004228: DBFE4440 78000024
	ds_read_b128 a[124:127], v36 offset:17504                  // 000000004230: DBFE4460 7C000024
	v_mfma_f32_32x32x8_bf16 v[68:83], a[72:73], a[24:25], v[68:83]// 000000004238: D3E00044 1D123148
	s_add_u32 m0, 0x440, m0                                    // 000000004240: 807C7CFF 00000440
	buffer_load_dword v22, s[12:15], s60 offen lds             // 000000004248: E0511000 3C030016
	v_mfma_f32_32x32x8_bf16 v[68:83], a[74:75], a[26:27], v[68:83]// 000000004250: D3E00044 1D12354A
	ds_read_b128 a[128:131], v36 offset:21760                  // 000000004258: DBFE5500 80000024
	ds_read_b128 a[132:135], v36 offset:21792                  // 000000004260: DBFE5520 84000024
	v_mfma_f32_32x32x8_bf16 v[68:83], a[76:77], a[28:29], v[68:83]// 000000004268: D3E00044 1D12394C
	s_add_u32 m0, 0x440, m0                                    // 000000004270: 807C7CFF 00000440
	buffer_load_dword v23, s[12:15], s60 offen lds             // 000000004278: E0511000 3C030017
	v_mfma_f32_32x32x8_bf16 v[68:83], a[78:79], a[30:31], v[68:83]// 000000004280: D3E00044 1D123D4E
	ds_read_b128 a[136:139], v36 offset:21824                  // 000000004288: DBFE5540 88000024
	ds_read_b128 a[140:143], v36 offset:21856                  // 000000004290: DBFE5560 8C000024
	v_mfma_f32_32x32x8_bf16 v[68:83], a[80:81], a[32:33], v[68:83]// 000000004298: D3E00044 1D124150
	s_add_u32 m0, 0x440, m0                                    // 0000000042A0: 807C7CFF 00000440
	buffer_load_dword v24, s[12:15], s60 offen lds             // 0000000042A8: E0511000 3C030018
	v_mfma_f32_32x32x8_bf16 v[68:83], a[82:83], a[34:35], v[68:83]// 0000000042B0: D3E00044 1D124552
	v_mfma_f32_32x32x8_bf16 v[68:83], a[84:85], a[36:37], v[68:83]// 0000000042B8: D3E00044 1D124954
	s_add_u32 m0, 0x440, m0                                    // 0000000042C0: 807C7CFF 00000440
	buffer_load_dword v25, s[12:15], s60 offen lds             // 0000000042C8: E0511000 3C030019
	v_mfma_f32_32x32x8_bf16 v[68:83], a[86:87], a[38:39], v[68:83]// 0000000042D0: D3E00044 1D124D56
	v_mfma_f32_32x32x8_bf16 v[68:83], a[88:89], a[40:41], v[68:83]// 0000000042D8: D3E00044 1D125158
	s_add_u32 m0, 0x440, m0                                    // 0000000042E0: 807C7CFF 00000440
	buffer_load_dword v26, s[12:15], s60 offen lds             // 0000000042E8: E0511000 3C03001A
	v_mfma_f32_32x32x8_bf16 v[68:83], a[90:91], a[42:43], v[68:83]// 0000000042F0: D3E00044 1D12555A
	v_mfma_f32_32x32x8_bf16 v[68:83], a[92:93], a[44:45], v[68:83]// 0000000042F8: D3E00044 1D12595C
	s_add_u32 m0, 0x440, m0                                    // 000000004300: 807C7CFF 00000440
	buffer_load_dword v27, s[12:15], s60 offen lds             // 000000004308: E0511000 3C03001B
	v_mfma_f32_32x32x8_bf16 v[68:83], a[94:95], a[46:47], v[68:83]// 000000004310: D3E00044 1D125D5E
	s_add_i32 s60, s43, s60                                    // 000000004318: 813C3C2B
	s_waitcnt vmcnt(12) lgkmcnt(0)                             // 00000000431C: BF8C007C
	s_barrier                                                  // 000000004320: BF8A0000
	v_perm_b32 v188, v173, v172, s50                           // 000000004324: D1ED00BC 00CB59AD
	v_perm_b32 v192, v173, v172, s49                           // 00000000432C: D1ED00C0 00C759AD
	v_perm_b32 v189, v175, v174, s50                           // 000000004334: D1ED00BD 00CB5DAF
	v_perm_b32 v193, v175, v174, s49                           // 00000000433C: D1ED00C1 00C75DAF
	v_perm_b32 v190, v177, v176, s50                           // 000000004344: D1ED00BE 00CB61B1
	v_perm_b32 v194, v177, v176, s49                           // 00000000434C: D1ED00C2 00C761B1
	v_perm_b32 v191, v179, v178, s50                           // 000000004354: D1ED00BF 00CB65B3
	v_perm_b32 v195, v179, v178, s49                           // 00000000435C: D1ED00C3 00C765B3
	buffer_load_dword v164, v28, s[16:19], s35 offen           // 000000004364: E0501000 2304A41C
	buffer_load_dword v165, v29, s[16:19], s35 offen           // 00000000436C: E0501000 2304A51D
	buffer_load_dword v166, v30, s[16:19], s35 offen           // 000000004374: E0501000 2304A61E
	buffer_load_dword v167, v31, s[16:19], s35 offen           // 00000000437C: E0501000 2304A71F
	buffer_load_dword v168, v32, s[16:19], s35 offen           // 000000004384: E0501000 2304A820
	buffer_load_dword v169, v33, s[16:19], s35 offen           // 00000000438C: E0501000 2304A921
	buffer_load_dword v170, v34, s[16:19], s35 offen           // 000000004394: E0501000 2304AA22
	buffer_load_dword v171, v35, s[16:19], s35 offen           // 00000000439C: E0501000 2304AB23
	s_add_i32 s35, s44, s35                                    // 0000000043A4: 8123232C
	ds_read_b128 a[144:147], v37 offset:26112                  // 0000000043A8: DBFE6600 90000025
	ds_read_b128 a[148:151], v37 offset:28160                  // 0000000043B0: DBFE6E00 94000025
	ds_read_b128 a[152:155], v37 offset:26368                  // 0000000043B8: DBFE6700 98000025
	ds_read_b128 a[156:159], v37 offset:28416                  // 0000000043C0: DBFE6F00 9C000025
	ds_read_b128 a[160:163], v37 offset:26624                  // 0000000043C8: DBFE6800 A0000025
	ds_read_b128 a[164:167], v37 offset:28672                  // 0000000043D0: DBFE7000 A4000025
	ds_read_b128 a[168:171], v37 offset:26880                  // 0000000043D8: DBFE6900 A8000025
	ds_read_b128 a[172:175], v37 offset:28928                  // 0000000043E0: DBFE7100 AC000025
	s_nop 0                                                    // 0000000043E8: BF800000
	s_cmp_lt_i32 s52, s54                                      // 0000000043EC: BF043634
	s_cbranch_scc1 label_0480                                  // 0000000043F0: BF850043
	s_sub_i32 s40, s7, s52                                     // 0000000043F4: 81A83407
	v_sub_i32 v40, s40, v54                                    // 0000000043F8: D29D0028 00026C28
	v_cmp_lt_i32_e64 s[72:73], 0, v40                          // 000000004400: D0C10048 00025080
	v_cmp_lt_i32_e64 s[74:75], 1, v40                          // 000000004408: D0C1004A 00025081
	v_cndmask_b32_e64 v68, v55, v68, s[72:73]                  // 000000004410: D1000044 01228937
	v_cndmask_b32_e64 v69, v55, v69, s[74:75]                  // 000000004418: D1000045 012A8B37
	v_cmp_lt_i32_e64 s[72:73], 2, v40                          // 000000004420: D0C10048 00025082
	v_cmp_lt_i32_e64 s[74:75], 3, v40                          // 000000004428: D0C1004A 00025083
	v_cndmask_b32_e64 v70, v55, v70, s[72:73]                  // 000000004430: D1000046 01228D37
	v_cndmask_b32_e64 v71, v55, v71, s[74:75]                  // 000000004438: D1000047 012A8F37
	v_cmp_lt_i32_e64 s[72:73], 8, v40                          // 000000004440: D0C10048 00025088
	v_cmp_lt_i32_e64 s[74:75], 9, v40                          // 000000004448: D0C1004A 00025089
	v_cndmask_b32_e64 v72, v55, v72, s[72:73]                  // 000000004450: D1000048 01229137
	v_cndmask_b32_e64 v73, v55, v73, s[74:75]                  // 000000004458: D1000049 012A9337
	v_cmp_lt_i32_e64 s[72:73], 10, v40                         // 000000004460: D0C10048 0002508A
	v_cmp_lt_i32_e64 s[74:75], 11, v40                         // 000000004468: D0C1004A 0002508B
	v_cndmask_b32_e64 v74, v55, v74, s[72:73]                  // 000000004470: D100004A 01229537
	v_cndmask_b32_e64 v75, v55, v75, s[74:75]                  // 000000004478: D100004B 012A9737
	v_cmp_lt_i32_e64 s[72:73], 16, v40                         // 000000004480: D0C10048 00025090
	v_cmp_lt_i32_e64 s[74:75], 17, v40                         // 000000004488: D0C1004A 00025091
	v_cndmask_b32_e64 v76, v55, v76, s[72:73]                  // 000000004490: D100004C 01229937
	v_cndmask_b32_e64 v77, v55, v77, s[74:75]                  // 000000004498: D100004D 012A9B37
	v_cmp_lt_i32_e64 s[72:73], 18, v40                         // 0000000044A0: D0C10048 00025092
	v_cmp_lt_i32_e64 s[74:75], 19, v40                         // 0000000044A8: D0C1004A 00025093
	v_cndmask_b32_e64 v78, v55, v78, s[72:73]                  // 0000000044B0: D100004E 01229D37
	v_cndmask_b32_e64 v79, v55, v79, s[74:75]                  // 0000000044B8: D100004F 012A9F37
	v_cmp_lt_i32_e64 s[72:73], 24, v40                         // 0000000044C0: D0C10048 00025098
	v_cmp_lt_i32_e64 s[74:75], 25, v40                         // 0000000044C8: D0C1004A 00025099
	v_cndmask_b32_e64 v80, v55, v80, s[72:73]                  // 0000000044D0: D1000050 0122A137
	v_cndmask_b32_e64 v81, v55, v81, s[74:75]                  // 0000000044D8: D1000051 012AA337
	v_cmp_lt_i32_e64 s[72:73], 26, v40                         // 0000000044E0: D0C10048 0002509A
	v_cmp_lt_i32_e64 s[74:75], 27, v40                         // 0000000044E8: D0C1004A 0002509B
	v_cndmask_b32_e64 v82, v55, v82, s[72:73]                  // 0000000044F0: D1000052 0122A537
	v_cndmask_b32_e64 v83, v55, v83, s[74:75]                  // 0000000044F8: D1000053 012AA737

0000000000004500 <label_0480>:
	v_max3_f32 v49, v68, v69, v52                              // 000000004500: D1D30031 04D28B44
	v_max3_f32 v49, v70, v71, v49                              // 000000004508: D1D30031 04C68F46
	v_max3_f32 v49, v72, v73, v49                              // 000000004510: D1D30031 04C69348
	v_max3_f32 v49, v74, v75, v49                              // 000000004518: D1D30031 04C6974A
	v_max3_f32 v49, v76, v77, v49                              // 000000004520: D1D30031 04C69B4C
	v_max3_f32 v49, v78, v79, v49                              // 000000004528: D1D30031 04C69F4E
	v_max3_f32 v49, v80, v81, v49                              // 000000004530: D1D30031 04C6A350
	v_max3_f32 v49, v82, v83, v49                              // 000000004538: D1D30031 04C6A752
	ds_permute_b32 v48, v56, v49                               // 000000004540: D87C0000 30003138
	s_waitcnt lgkmcnt(0)                                       // 000000004548: BF8CC07F
	s_nop 0                                                    // 00000000454C: BF800000
	v_max_f32_e32 v49, v48, v49                                // 000000004550: 16626330
	v_mov_b32_e32 v44, 0                                       // 000000004554: 7E580280
	v_mov_b32_e32 v52, v49                                     // 000000004558: 7E680331
	v_mul_f32_e32 v51, s56, v49                                // 00000000455C: 0A666238
	v_mul_f32_e32 v44, s56, v44                                // 000000004560: 0A585838
	v_exp_f32_e32 v44, v44                                     // 000000004564: 7E58412C
	v_add_f32_e64 v60, 0, -v51                                 // 000000004568: D101003C 40026680
	v_mov_b32_e32 v61, v60                                     // 000000004570: 7E7A033C
	s_nop 0                                                    // 000000004574: BF800000
	v_pk_fma_f32 v[68:69], v[68:69], s[56:57], v[60:61]        // 000000004578: D3B04044 1CF07144
	v_pk_fma_f32 v[70:71], v[70:71], s[56:57], v[60:61]        // 000000004580: D3B04046 1CF07146
	v_pk_fma_f32 v[72:73], v[72:73], s[56:57], v[60:61]        // 000000004588: D3B04048 1CF07148
	v_pk_fma_f32 v[74:75], v[74:75], s[56:57], v[60:61]        // 000000004590: D3B0404A 1CF0714A
	v_pk_fma_f32 v[76:77], v[76:77], s[56:57], v[60:61]        // 000000004598: D3B0404C 1CF0714C
	v_pk_fma_f32 v[78:79], v[78:79], s[56:57], v[60:61]        // 0000000045A0: D3B0404E 1CF0714E
	v_pk_fma_f32 v[80:81], v[80:81], s[56:57], v[60:61]        // 0000000045A8: D3B04050 1CF07150
	v_pk_fma_f32 v[82:83], v[82:83], s[56:57], v[60:61]        // 0000000045B0: D3B04052 1CF07152
	s_nop 0                                                    // 0000000045B8: BF800000
	s_addk_i32 s39, 0x20                                       // 0000000045BC: B7270020
	s_add_i32 s52, s52, s53                                    // 0000000045C0: 81343534
	s_cmp_lt_i32 s39, s38                                      // 0000000045C4: BF042627
	s_cbranch_scc0 label_0BA8                                  // 0000000045C8: BF8406F5
	s_cmp_lt_i32 s5, 2                                         // 0000000045CC: BF048205
	s_cbranch_scc0 label_082E                                  // 0000000045D0: BF840379

00000000000045d4 <label_04B5>:
	s_waitcnt vmcnt(8) lgkmcnt(8)                              // 0000000045D4: BF8C0878
	s_barrier                                                  // 0000000045D8: BF8A0000
	v_mfma_f32_32x32x8_bf16 v[84:99], a[96:97], a[0:1], 0      // 0000000045DC: D3E00054 1A020160
	s_mov_b32 m0, s69                                          // 0000000045E4: BEFC0045
	buffer_load_dword v16, s[12:15], s60 offen lds             // 0000000045E8: E0511000 3C030010
	ds_write_b128 v38, v[188:191] offset:34432                 // 0000000045F0: D9BE8680 0000BC26
	v_mfma_f32_32x32x8_bf16 v[84:99], a[98:99], a[2:3], v[84:99]// 0000000045F8: D3E00054 1D520562
	v_mfma_f32_32x32x8_bf16 v[84:99], a[100:101], a[4:5], v[84:99]// 000000004600: D3E00054 1D520964
	s_add_u32 m0, 0x440, m0                                    // 000000004608: 807C7CFF 00000440
	buffer_load_dword v17, s[12:15], s60 offen lds             // 000000004610: E0511000 3C030011
	ds_write_b128 v38, v[192:195] offset:38592                 // 000000004618: D9BE96C0 0000C026
	v_mfma_f32_32x32x8_bf16 v[84:99], a[102:103], a[6:7], v[84:99]// 000000004620: D3E00054 1D520D66
	v_mfma_f32_32x32x8_bf16 v[84:99], a[104:105], a[8:9], v[84:99]// 000000004628: D3E00054 1D521168
	s_add_u32 m0, 0x440, m0                                    // 000000004630: 807C7CFF 00000440
	buffer_load_dword v18, s[12:15], s60 offen lds             // 000000004638: E0511000 3C030012
	ds_read_b128 a[48:51], v36                                 // 000000004640: DBFE0000 30000024
	ds_read_b128 a[52:55], v36 offset:32                       // 000000004648: DBFE0020 34000024
	v_mfma_f32_32x32x8_bf16 v[84:99], a[106:107], a[10:11], v[84:99]// 000000004650: D3E00054 1D52156A
	v_mfma_f32_32x32x8_bf16 v[84:99], a[108:109], a[12:13], v[84:99]// 000000004658: D3E00054 1D52196C
	s_add_u32 m0, 0x440, m0                                    // 000000004660: 807C7CFF 00000440
	buffer_load_dword v19, s[12:15], s60 offen lds             // 000000004668: E0511000 3C030013
	ds_read_b128 a[56:59], v36 offset:64                       // 000000004670: DBFE0040 38000024
	ds_read_b128 a[60:63], v36 offset:96                       // 000000004678: DBFE0060 3C000024
	v_mfma_f32_32x32x8_bf16 v[84:99], a[110:111], a[14:15], v[84:99]// 000000004680: D3E00054 1D521D6E
	v_mfma_f32_32x32x8_bf16 v[84:99], a[112:113], a[16:17], v[84:99]// 000000004688: D3E00054 1D522170
	s_add_u32 m0, 0x440, m0                                    // 000000004690: 807C7CFF 00000440
	buffer_load_dword v20, s[12:15], s60 offen lds             // 000000004698: E0511000 3C030014
	ds_read_b128 a[64:67], v36 offset:4352                     // 0000000046A0: DBFE1100 40000024
	ds_read_b128 a[68:71], v36 offset:4384                     // 0000000046A8: DBFE1120 44000024
	v_mfma_f32_32x32x8_bf16 v[84:99], a[114:115], a[18:19], v[84:99]// 0000000046B0: D3E00054 1D522572
	v_mfma_f32_32x32x8_bf16 v[84:99], a[116:117], a[20:21], v[84:99]// 0000000046B8: D3E00054 1D522974
	s_add_u32 m0, 0x440, m0                                    // 0000000046C0: 807C7CFF 00000440
	buffer_load_dword v21, s[12:15], s60 offen lds             // 0000000046C8: E0511000 3C030015
	ds_read_b128 a[72:75], v36 offset:4416                     // 0000000046D0: DBFE1140 48000024
	ds_read_b128 a[76:79], v36 offset:4448                     // 0000000046D8: DBFE1160 4C000024
	v_mfma_f32_32x32x8_bf16 v[84:99], a[118:119], a[22:23], v[84:99]// 0000000046E0: D3E00054 1D522D76
	v_mfma_f32_32x32x8_bf16 v[84:99], a[120:121], a[24:25], v[84:99]// 0000000046E8: D3E00054 1D523178
	s_add_u32 m0, 0x440, m0                                    // 0000000046F0: 807C7CFF 00000440
	buffer_load_dword v22, s[12:15], s60 offen lds             // 0000000046F8: E0511000 3C030016
	ds_read_b128 a[80:83], v36 offset:8704                     // 000000004700: DBFE2200 50000024
	ds_read_b128 a[84:87], v36 offset:8736                     // 000000004708: DBFE2220 54000024
	v_mfma_f32_32x32x8_bf16 v[84:99], a[122:123], a[26:27], v[84:99]// 000000004710: D3E00054 1D52357A
	v_mfma_f32_32x32x8_bf16 v[84:99], a[124:125], a[28:29], v[84:99]// 000000004718: D3E00054 1D52397C
	s_add_u32 m0, 0x440, m0                                    // 000000004720: 807C7CFF 00000440
	buffer_load_dword v23, s[12:15], s60 offen lds             // 000000004728: E0511000 3C030017
	ds_read_b128 a[88:91], v36 offset:8768                     // 000000004730: DBFE2240 58000024
	ds_read_b128 a[92:95], v36 offset:8800                     // 000000004738: DBFE2260 5C000024
	v_mfma_f32_32x32x8_bf16 v[84:99], a[126:127], a[30:31], v[84:99]// 000000004740: D3E00054 1D523D7E
	v_mfma_f32_32x32x8_bf16 v[84:99], a[128:129], a[32:33], v[84:99]// 000000004748: D3E00054 1D524180
	s_add_u32 m0, 0x440, m0                                    // 000000004750: 807C7CFF 00000440
	buffer_load_dword v24, s[12:15], s60 offen lds             // 000000004758: E0511000 3C030018
	v_mfma_f32_32x32x8_bf16 v[84:99], a[130:131], a[34:35], v[84:99]// 000000004760: D3E00054 1D524582
	v_mfma_f32_32x32x8_bf16 v[84:99], a[132:133], a[36:37], v[84:99]// 000000004768: D3E00054 1D524984
	s_add_u32 m0, 0x440, m0                                    // 000000004770: 807C7CFF 00000440
	buffer_load_dword v25, s[12:15], s60 offen lds             // 000000004778: E0511000 3C030019
	v_mfma_f32_32x32x8_bf16 v[84:99], a[134:135], a[38:39], v[84:99]// 000000004780: D3E00054 1D524D86
	v_mfma_f32_32x32x8_bf16 v[84:99], a[136:137], a[40:41], v[84:99]// 000000004788: D3E00054 1D525188
	s_add_u32 m0, 0x440, m0                                    // 000000004790: 807C7CFF 00000440
	buffer_load_dword v26, s[12:15], s60 offen lds             // 000000004798: E0511000 3C03001A
	v_mfma_f32_32x32x8_bf16 v[84:99], a[138:139], a[42:43], v[84:99]// 0000000047A0: D3E00054 1D52558A
	v_mfma_f32_32x32x8_bf16 v[84:99], a[140:141], a[44:45], v[84:99]// 0000000047A8: D3E00054 1D52598C
	s_add_u32 m0, 0x440, m0                                    // 0000000047B0: 807C7CFF 00000440
	buffer_load_dword v27, s[12:15], s60 offen lds             // 0000000047B8: E0511000 3C03001B
	s_nop 0                                                    // 0000000047C0: BF800000
	v_exp_f32_e32 v68, v68                                     // 0000000047C4: 7E884144
	v_exp_f32_e32 v69, v69                                     // 0000000047C8: 7E8A4145
	v_exp_f32_e32 v70, v70                                     // 0000000047CC: 7E8C4146
	v_exp_f32_e32 v71, v71                                     // 0000000047D0: 7E8E4147
	v_exp_f32_e32 v72, v72                                     // 0000000047D4: 7E904148
	v_exp_f32_e32 v73, v73                                     // 0000000047D8: 7E924149
	v_exp_f32_e32 v74, v74                                     // 0000000047DC: 7E94414A
	v_exp_f32_e32 v75, v75                                     // 0000000047E0: 7E96414B
	v_exp_f32_e32 v76, v76                                     // 0000000047E4: 7E98414C
	v_exp_f32_e32 v77, v77                                     // 0000000047E8: 7E9A414D
	v_exp_f32_e32 v78, v78                                     // 0000000047EC: 7E9C414E
	v_exp_f32_e32 v79, v79                                     // 0000000047F0: 7E9E414F
	v_exp_f32_e32 v80, v80                                     // 0000000047F4: 7EA04150
	v_exp_f32_e32 v81, v81                                     // 0000000047F8: 7EA24151
	v_exp_f32_e32 v82, v82                                     // 0000000047FC: 7EA44152
	v_exp_f32_e32 v83, v83                                     // 000000004800: 7EA64153
	v_mul_f32_e32 v46, v44, v46                                // 000000004804: 0A5C5D2C
	v_pk_add_f32 v[62:63], v[68:69], v[70:71]                  // 000000004808: D3B2403E 18028D44
	v_pk_add_f32 v[62:63], v[72:73], v[62:63]                  // 000000004810: D3B2403E 18027D48
	v_pk_add_f32 v[62:63], v[74:75], v[62:63]                  // 000000004818: D3B2403E 18027D4A
	v_pk_add_f32 v[62:63], v[76:77], v[62:63]                  // 000000004820: D3B2403E 18027D4C
	v_pk_add_f32 v[62:63], v[78:79], v[62:63]                  // 000000004828: D3B2403E 18027D4E
	v_pk_add_f32 v[62:63], v[80:81], v[62:63]                  // 000000004830: D3B2403E 18027D50
	v_pk_add_f32 v[62:63], v[82:83], v[62:63]                  // 000000004838: D3B2403E 18027D52
	v_add_f32_e32 v62, v62, v63                                // 000000004840: 027C7F3E
	v_add_f32_e32 v46, v62, v46                                // 000000004844: 025C5D3E
	v_perm_b32 v68, v69, v68, s49                              // 000000004848: D1ED0044 00C68945
	v_perm_b32 v69, v71, v70, s49                              // 000000004850: D1ED0045 00C68D47
	v_perm_b32 v70, v73, v72, s49                              // 000000004858: D1ED0046 00C69149
	v_perm_b32 v71, v75, v74, s49                              // 000000004860: D1ED0047 00C6954B
	v_perm_b32 v72, v77, v76, s49                              // 000000004868: D1ED0048 00C6994D
	v_perm_b32 v73, v79, v78, s49                              // 000000004870: D1ED0049 00C69D4F
	v_perm_b32 v74, v81, v80, s49                              // 000000004878: D1ED004A 00C6A151
	v_perm_b32 v75, v83, v82, s49                              // 000000004880: D1ED004B 00C6A553
	v_mfma_f32_32x32x8_bf16 v[84:99], a[142:143], a[46:47], v[84:99]// 000000004888: D3E00054 1D525D8E
	s_add_i32 s60, s43, s60                                    // 000000004890: 813C3C2B
	s_cmp_lt_i32 s52, s54                                      // 000000004894: BF043634
	s_cbranch_scc1 label_05AA                                  // 000000004898: BF850043
	s_sub_i32 s40, s7, s52                                     // 00000000489C: 81A83407
	v_sub_i32 v40, s40, v54                                    // 0000000048A0: D29D0028 00026C28
	v_cmp_lt_i32_e64 s[72:73], 0, v40                          // 0000000048A8: D0C10048 00025080
	v_cmp_lt_i32_e64 s[74:75], 1, v40                          // 0000000048B0: D0C1004A 00025081
	v_cndmask_b32_e64 v84, v55, v84, s[72:73]                  // 0000000048B8: D1000054 0122A937
	v_cndmask_b32_e64 v85, v55, v85, s[74:75]                  // 0000000048C0: D1000055 012AAB37
	v_cmp_lt_i32_e64 s[72:73], 2, v40                          // 0000000048C8: D0C10048 00025082
	v_cmp_lt_i32_e64 s[74:75], 3, v40                          // 0000000048D0: D0C1004A 00025083
	v_cndmask_b32_e64 v86, v55, v86, s[72:73]                  // 0000000048D8: D1000056 0122AD37
	v_cndmask_b32_e64 v87, v55, v87, s[74:75]                  // 0000000048E0: D1000057 012AAF37
	v_cmp_lt_i32_e64 s[72:73], 8, v40                          // 0000000048E8: D0C10048 00025088
	v_cmp_lt_i32_e64 s[74:75], 9, v40                          // 0000000048F0: D0C1004A 00025089
	v_cndmask_b32_e64 v88, v55, v88, s[72:73]                  // 0000000048F8: D1000058 0122B137
	v_cndmask_b32_e64 v89, v55, v89, s[74:75]                  // 000000004900: D1000059 012AB337
	v_cmp_lt_i32_e64 s[72:73], 10, v40                         // 000000004908: D0C10048 0002508A
	v_cmp_lt_i32_e64 s[74:75], 11, v40                         // 000000004910: D0C1004A 0002508B
	v_cndmask_b32_e64 v90, v55, v90, s[72:73]                  // 000000004918: D100005A 0122B537
	v_cndmask_b32_e64 v91, v55, v91, s[74:75]                  // 000000004920: D100005B 012AB737
	v_cmp_lt_i32_e64 s[72:73], 16, v40                         // 000000004928: D0C10048 00025090
	v_cmp_lt_i32_e64 s[74:75], 17, v40                         // 000000004930: D0C1004A 00025091
	v_cndmask_b32_e64 v92, v55, v92, s[72:73]                  // 000000004938: D100005C 0122B937
	v_cndmask_b32_e64 v93, v55, v93, s[74:75]                  // 000000004940: D100005D 012ABB37
	v_cmp_lt_i32_e64 s[72:73], 18, v40                         // 000000004948: D0C10048 00025092
	v_cmp_lt_i32_e64 s[74:75], 19, v40                         // 000000004950: D0C1004A 00025093
	v_cndmask_b32_e64 v94, v55, v94, s[72:73]                  // 000000004958: D100005E 0122BD37
	v_cndmask_b32_e64 v95, v55, v95, s[74:75]                  // 000000004960: D100005F 012ABF37
	v_cmp_lt_i32_e64 s[72:73], 24, v40                         // 000000004968: D0C10048 00025098
	v_cmp_lt_i32_e64 s[74:75], 25, v40                         // 000000004970: D0C1004A 00025099
	v_cndmask_b32_e64 v96, v55, v96, s[72:73]                  // 000000004978: D1000060 0122C137
	v_cndmask_b32_e64 v97, v55, v97, s[74:75]                  // 000000004980: D1000061 012AC337
	v_cmp_lt_i32_e64 s[72:73], 26, v40                         // 000000004988: D0C10048 0002509A
	v_cmp_lt_i32_e64 s[74:75], 27, v40                         // 000000004990: D0C1004A 0002509B
	v_cndmask_b32_e64 v98, v55, v98, s[72:73]                  // 000000004998: D1000062 0122C537
	v_cndmask_b32_e64 v99, v55, v99, s[74:75]                  // 0000000049A0: D1000063 012AC737

00000000000049a8 <label_05AA>:
	s_waitcnt vmcnt(12) lgkmcnt(12)                            // 0000000049A8: BF8C0C7C
	s_barrier                                                  // 0000000049AC: BF8A0000
	v_max3_f32 v49, v84, v85, v52                              // 0000000049B0: D1D30031 04D2AB54
	v_max3_f32 v49, v86, v87, v49                              // 0000000049B8: D1D30031 04C6AF56
	v_max3_f32 v49, v88, v89, v49                              // 0000000049C0: D1D30031 04C6B358
	v_max3_f32 v49, v90, v91, v49                              // 0000000049C8: D1D30031 04C6B75A
	v_max3_f32 v49, v92, v93, v49                              // 0000000049D0: D1D30031 04C6BB5C
	v_max3_f32 v49, v94, v95, v49                              // 0000000049D8: D1D30031 04C6BF5E
	v_max3_f32 v49, v96, v97, v49                              // 0000000049E0: D1D30031 04C6C360
	v_max3_f32 v49, v98, v99, v49                              // 0000000049E8: D1D30031 04C6C762
	v_mfma_f32_32x32x8_bf16 v[100:115], a[144:145], v[68:69], v[100:115]// 0000000049F0: D3E00064 0D928990
	buffer_load_dword v172, v28, s[16:19], s35 offen           // 0000000049F8: E0501000 2304AC1C
	ds_permute_b32 v48, v56, v49                               // 000000004A00: D87C0000 30003138
	v_mfma_f32_32x32x8_bf16 v[100:115], a[146:147], v[70:71], v[100:115]// 000000004A08: D3E00064 0D928D92
	v_mfma_f32_32x32x8_bf16 v[100:115], a[148:149], v[72:73], v[100:115]// 000000004A10: D3E00064 0D929194
	buffer_load_dword v173, v29, s[16:19], s35 offen           // 000000004A18: E0501000 2304AD1D
	v_perm_b32 v180, v165, v164, s50                           // 000000004A20: D1ED00B4 00CB49A5
	v_perm_b32 v184, v165, v164, s49                           // 000000004A28: D1ED00B8 00C749A5
	v_perm_b32 v181, v167, v166, s50                           // 000000004A30: D1ED00B5 00CB4DA7
	v_perm_b32 v185, v167, v166, s49                           // 000000004A38: D1ED00B9 00C74DA7
	v_perm_b32 v182, v169, v168, s50                           // 000000004A40: D1ED00B6 00CB51A9
	v_perm_b32 v186, v169, v168, s49                           // 000000004A48: D1ED00BA 00C751A9
	v_perm_b32 v183, v171, v170, s50                           // 000000004A50: D1ED00B7 00CB55AB
	v_perm_b32 v187, v171, v170, s49                           // 000000004A58: D1ED00BB 00C755AB
	v_mfma_f32_32x32x8_bf16 v[100:115], a[150:151], v[74:75], v[100:115]// 000000004A60: D3E00064 0D929596
	v_mfma_f32_32x32x8_bf16 v[116:131], a[152:153], v[68:69], v[116:131]// 000000004A68: D3E00074 0DD28998
	buffer_load_dword v174, v30, s[16:19], s35 offen           // 000000004A70: E0501000 2304AE1E
	v_mfma_f32_32x32x8_bf16 v[116:131], a[154:155], v[70:71], v[116:131]// 000000004A78: D3E00074 0DD28D9A
	s_waitcnt lgkmcnt(0)                                       // 000000004A80: BF8CC07F
	s_nop 0                                                    // 000000004A84: BF800000
	v_mfma_f32_32x32x8_bf16 v[116:131], a[156:157], v[72:73], v[116:131]// 000000004A88: D3E00074 0DD2919C
	buffer_load_dword v175, v31, s[16:19], s35 offen           // 000000004A90: E0501000 2304AF1F
	ds_read_b128 a[176:179], v37 offset:34432                  // 000000004A98: DBFE8680 B0000025
	ds_read_b128 a[180:183], v37 offset:36480                  // 000000004AA0: DBFE8E80 B4000025
	ds_read_b128 a[184:187], v37 offset:34688                  // 000000004AA8: DBFE8780 B8000025
	ds_read_b128 a[188:191], v37 offset:36736                  // 000000004AB0: DBFE8F80 BC000025
	v_mfma_f32_32x32x8_bf16 v[116:131], a[158:159], v[74:75], v[116:131]// 000000004AB8: D3E00074 0DD2959E
	v_mfma_f32_32x32x8_bf16 v[132:147], a[160:161], v[68:69], v[132:147]// 000000004AC0: D3E00084 0E1289A0
	buffer_load_dword v176, v32, s[16:19], s35 offen           // 000000004AC8: E0501000 2304B020
	v_mfma_f32_32x32x8_bf16 v[132:147], a[162:163], v[70:71], v[132:147]// 000000004AD0: D3E00084 0E128DA2
	v_mfma_f32_32x32x8_bf16 v[132:147], a[164:165], v[72:73], v[132:147]// 000000004AD8: D3E00084 0E1291A4
	buffer_load_dword v177, v33, s[16:19], s35 offen           // 000000004AE0: E0501000 2304B121
	ds_read_b128 a[192:195], v37 offset:34944                  // 000000004AE8: DBFE8880 C0000025
	ds_read_b128 a[196:199], v37 offset:36992                  // 000000004AF0: DBFE9080 C4000025
	ds_read_b128 a[200:203], v37 offset:35200                  // 000000004AF8: DBFE8980 C8000025
	ds_read_b128 a[204:207], v37 offset:37248                  // 000000004B00: DBFE9180 CC000025
	v_mfma_f32_32x32x8_bf16 v[132:147], a[166:167], v[74:75], v[132:147]// 000000004B08: D3E00084 0E1295A6
	v_mfma_f32_32x32x8_bf16 v[148:163], a[168:169], v[68:69], v[148:163]// 000000004B10: D3E00094 0E5289A8
	buffer_load_dword v178, v34, s[16:19], s35 offen           // 000000004B18: E0501000 2304B222
	v_mfma_f32_32x32x8_bf16 v[148:163], a[170:171], v[70:71], v[148:163]// 000000004B20: D3E00094 0E528DAA
	v_mfma_f32_32x32x8_bf16 v[148:163], a[172:173], v[72:73], v[148:163]// 000000004B28: D3E00094 0E5291AC
	buffer_load_dword v179, v35, s[16:19], s35 offen           // 000000004B30: E0501000 2304B323
	v_max_f32_e32 v49, v48, v49                                // 000000004B38: 16626330
	v_sub_f32_e32 v44, v52, v49                                // 000000004B3C: 04586334
	v_mov_b32_e32 v52, v49                                     // 000000004B40: 7E680331
	v_mul_f32_e32 v51, s56, v49                                // 000000004B44: 0A666238
	v_mul_f32_e32 v44, s56, v44                                // 000000004B48: 0A585838
	v_exp_f32_e32 v44, v44                                     // 000000004B4C: 7E58412C
	v_add_f32_e64 v60, 0, -v51                                 // 000000004B50: D101003C 40026680
	v_mov_b32_e32 v61, v60                                     // 000000004B58: 7E7A033C
	s_nop 0                                                    // 000000004B5C: BF800000
	v_pk_fma_f32 v[84:85], v[84:85], s[56:57], v[60:61]        // 000000004B60: D3B04054 1CF07154
	v_pk_fma_f32 v[86:87], v[86:87], s[56:57], v[60:61]        // 000000004B68: D3B04056 1CF07156
	v_pk_fma_f32 v[88:89], v[88:89], s[56:57], v[60:61]        // 000000004B70: D3B04058 1CF07158
	v_pk_fma_f32 v[90:91], v[90:91], s[56:57], v[60:61]        // 000000004B78: D3B0405A 1CF0715A
	v_pk_fma_f32 v[92:93], v[92:93], s[56:57], v[60:61]        // 000000004B80: D3B0405C 1CF0715C
	v_pk_fma_f32 v[94:95], v[94:95], s[56:57], v[60:61]        // 000000004B88: D3B0405E 1CF0715E
	v_pk_fma_f32 v[96:97], v[96:97], s[56:57], v[60:61]        // 000000004B90: D3B04060 1CF07160
	v_pk_fma_f32 v[98:99], v[98:99], s[56:57], v[60:61]        // 000000004B98: D3B04062 1CF07162
	v_mfma_f32_32x32x8_bf16 v[148:163], a[174:175], v[74:75], v[148:163]// 000000004BA0: D3E00094 0E5295AE
	s_add_i32 s35, s44, s35                                    // 000000004BA8: 8123232C
	s_add_i32 s52, s52, s53                                    // 000000004BAC: 81343534
	s_addk_i32 s39, 0x20                                       // 000000004BB0: B7270020
	s_cmp_lt_i32 s39, s38                                      // 000000004BB4: BF042627
	s_nop 0                                                    // 000000004BB8: BF800000
	v_mov_b32_e32 v45, v44                                     // 000000004BBC: 7E5A032C
	v_mul_f32_e32 v100, v44, v100                              // 000000004BC0: 0AC8C92C
	v_mul_f32_e32 v101, v44, v101                              // 000000004BC4: 0ACACB2C
	v_pk_mul_f32 v[102:103], v[44:45], v[102:103]              // 000000004BC8: D3B14066 1802CD2C
	v_pk_mul_f32 v[104:105], v[44:45], v[104:105]              // 000000004BD0: D3B14068 1802D12C
	v_pk_mul_f32 v[106:107], v[44:45], v[106:107]              // 000000004BD8: D3B1406A 1802D52C
	v_pk_mul_f32 v[108:109], v[44:45], v[108:109]              // 000000004BE0: D3B1406C 1802D92C
	v_pk_mul_f32 v[110:111], v[44:45], v[110:111]              // 000000004BE8: D3B1406E 1802DD2C
	v_pk_mul_f32 v[112:113], v[44:45], v[112:113]              // 000000004BF0: D3B14070 1802E12C
	v_pk_mul_f32 v[114:115], v[44:45], v[114:115]              // 000000004BF8: D3B14072 1802E52C
	v_pk_mul_f32 v[116:117], v[44:45], v[116:117]              // 000000004C00: D3B14074 1802E92C
	v_pk_mul_f32 v[118:119], v[44:45], v[118:119]              // 000000004C08: D3B14076 1802ED2C
	v_pk_mul_f32 v[120:121], v[44:45], v[120:121]              // 000000004C10: D3B14078 1802F12C
	v_pk_mul_f32 v[122:123], v[44:45], v[122:123]              // 000000004C18: D3B1407A 1802F52C
	v_pk_mul_f32 v[124:125], v[44:45], v[124:125]              // 000000004C20: D3B1407C 1802F92C
	v_pk_mul_f32 v[126:127], v[44:45], v[126:127]              // 000000004C28: D3B1407E 1802FD2C
	v_pk_mul_f32 v[128:129], v[44:45], v[128:129]              // 000000004C30: D3B14080 1803012C
	v_pk_mul_f32 v[130:131], v[44:45], v[130:131]              // 000000004C38: D3B14082 1803052C
	v_pk_mul_f32 v[132:133], v[44:45], v[132:133]              // 000000004C40: D3B14084 1803092C
	v_pk_mul_f32 v[134:135], v[44:45], v[134:135]              // 000000004C48: D3B14086 18030D2C
	v_pk_mul_f32 v[136:137], v[44:45], v[136:137]              // 000000004C50: D3B14088 1803112C
	v_pk_mul_f32 v[138:139], v[44:45], v[138:139]              // 000000004C58: D3B1408A 1803152C
	v_pk_mul_f32 v[140:141], v[44:45], v[140:141]              // 000000004C60: D3B1408C 1803192C
	v_pk_mul_f32 v[142:143], v[44:45], v[142:143]              // 000000004C68: D3B1408E 18031D2C
	v_pk_mul_f32 v[144:145], v[44:45], v[144:145]              // 000000004C70: D3B14090 1803212C
	v_pk_mul_f32 v[146:147], v[44:45], v[146:147]              // 000000004C78: D3B14092 1803252C
	v_pk_mul_f32 v[148:149], v[44:45], v[148:149]              // 000000004C80: D3B14094 1803292C
	v_pk_mul_f32 v[150:151], v[44:45], v[150:151]              // 000000004C88: D3B14096 18032D2C
	v_pk_mul_f32 v[152:153], v[44:45], v[152:153]              // 000000004C90: D3B14098 1803312C
	v_pk_mul_f32 v[154:155], v[44:45], v[154:155]              // 000000004C98: D3B1409A 1803352C
	v_pk_mul_f32 v[156:157], v[44:45], v[156:157]              // 000000004CA0: D3B1409C 1803392C
	v_pk_mul_f32 v[158:159], v[44:45], v[158:159]              // 000000004CA8: D3B1409E 18033D2C
	v_pk_mul_f32 v[160:161], v[44:45], v[160:161]              // 000000004CB0: D3B140A0 1803412C
	v_pk_mul_f32 v[162:163], v[44:45], v[162:163]              // 000000004CB8: D3B140A2 1803452C
	s_cbranch_scc0 label_0BA8                                  // 000000004CC0: BF840537
	s_waitcnt vmcnt(8) lgkmcnt(8)                              // 000000004CC4: BF8C0878
	s_barrier                                                  // 000000004CC8: BF8A0000
	v_mfma_f32_32x32x8_bf16 v[68:83], a[48:49], a[0:1], 0      // 000000004CCC: D3E00044 1A020130
	s_mov_b32 m0, s68                                          // 000000004CD4: BEFC0044
	buffer_load_dword v16, s[12:15], s60 offen lds             // 000000004CD8: E0511000 3C030010
	ds_write_b128 v38, v[180:183] offset:26112                 // 000000004CE0: D9BE6600 0000B426
	v_mfma_f32_32x32x8_bf16 v[68:83], a[50:51], a[2:3], v[68:83]// 000000004CE8: D3E00044 1D120532
	v_mfma_f32_32x32x8_bf16 v[68:83], a[52:53], a[4:5], v[68:83]// 000000004CF0: D3E00044 1D120934
	s_add_u32 m0, 0x440, m0                                    // 000000004CF8: 807C7CFF 00000440
	buffer_load_dword v17, s[12:15], s60 offen lds             // 000000004D00: E0511000 3C030011
	ds_write_b128 v38, v[184:187] offset:30272                 // 000000004D08: D9BE7640 0000B826
	v_mfma_f32_32x32x8_bf16 v[68:83], a[54:55], a[6:7], v[68:83]// 000000004D10: D3E00044 1D120D36
	v_mfma_f32_32x32x8_bf16 v[68:83], a[56:57], a[8:9], v[68:83]// 000000004D18: D3E00044 1D121138
	s_add_u32 m0, 0x440, m0                                    // 000000004D20: 807C7CFF 00000440
	buffer_load_dword v18, s[12:15], s60 offen lds             // 000000004D28: E0511000 3C030012
	ds_read_b128 a[96:99], v36 offset:13056                    // 000000004D30: DBFE3300 60000024
	ds_read_b128 a[100:103], v36 offset:13088                  // 000000004D38: DBFE3320 64000024
	v_mfma_f32_32x32x8_bf16 v[68:83], a[58:59], a[10:11], v[68:83]// 000000004D40: D3E00044 1D12153A
	v_mfma_f32_32x32x8_bf16 v[68:83], a[60:61], a[12:13], v[68:83]// 000000004D48: D3E00044 1D12193C
	s_add_u32 m0, 0x440, m0                                    // 000000004D50: 807C7CFF 00000440
	buffer_load_dword v19, s[12:15], s60 offen lds             // 000000004D58: E0511000 3C030013
	ds_read_b128 a[104:107], v36 offset:13120                  // 000000004D60: DBFE3340 68000024
	ds_read_b128 a[108:111], v36 offset:13152                  // 000000004D68: DBFE3360 6C000024
	v_mfma_f32_32x32x8_bf16 v[68:83], a[62:63], a[14:15], v[68:83]// 000000004D70: D3E00044 1D121D3E
	v_mfma_f32_32x32x8_bf16 v[68:83], a[64:65], a[16:17], v[68:83]// 000000004D78: D3E00044 1D122140
	s_add_u32 m0, 0x440, m0                                    // 000000004D80: 807C7CFF 00000440
	buffer_load_dword v20, s[12:15], s60 offen lds             // 000000004D88: E0511000 3C030014
	ds_read_b128 a[112:115], v36 offset:17408                  // 000000004D90: DBFE4400 70000024
	ds_read_b128 a[116:119], v36 offset:17440                  // 000000004D98: DBFE4420 74000024
	v_mfma_f32_32x32x8_bf16 v[68:83], a[66:67], a[18:19], v[68:83]// 000000004DA0: D3E00044 1D122542
	v_mfma_f32_32x32x8_bf16 v[68:83], a[68:69], a[20:21], v[68:83]// 000000004DA8: D3E00044 1D122944
	s_add_u32 m0, 0x440, m0                                    // 000000004DB0: 807C7CFF 00000440
	buffer_load_dword v21, s[12:15], s60 offen lds             // 000000004DB8: E0511000 3C030015
	ds_read_b128 a[120:123], v36 offset:17472                  // 000000004DC0: DBFE4440 78000024
	ds_read_b128 a[124:127], v36 offset:17504                  // 000000004DC8: DBFE4460 7C000024
	v_mfma_f32_32x32x8_bf16 v[68:83], a[70:71], a[22:23], v[68:83]// 000000004DD0: D3E00044 1D122D46
	v_mfma_f32_32x32x8_bf16 v[68:83], a[72:73], a[24:25], v[68:83]// 000000004DD8: D3E00044 1D123148
	s_add_u32 m0, 0x440, m0                                    // 000000004DE0: 807C7CFF 00000440
	buffer_load_dword v22, s[12:15], s60 offen lds             // 000000004DE8: E0511000 3C030016
	ds_read_b128 a[128:131], v36 offset:21760                  // 000000004DF0: DBFE5500 80000024
	ds_read_b128 a[132:135], v36 offset:21792                  // 000000004DF8: DBFE5520 84000024
	v_mfma_f32_32x32x8_bf16 v[68:83], a[74:75], a[26:27], v[68:83]// 000000004E00: D3E00044 1D12354A
	v_mfma_f32_32x32x8_bf16 v[68:83], a[76:77], a[28:29], v[68:83]// 000000004E08: D3E00044 1D12394C
	s_add_u32 m0, 0x440, m0                                    // 000000004E10: 807C7CFF 00000440
	buffer_load_dword v23, s[12:15], s60 offen lds             // 000000004E18: E0511000 3C030017
	ds_read_b128 a[136:139], v36 offset:21824                  // 000000004E20: DBFE5540 88000024
	ds_read_b128 a[140:143], v36 offset:21856                  // 000000004E28: DBFE5560 8C000024
	v_mfma_f32_32x32x8_bf16 v[68:83], a[78:79], a[30:31], v[68:83]// 000000004E30: D3E00044 1D123D4E
	v_mfma_f32_32x32x8_bf16 v[68:83], a[80:81], a[32:33], v[68:83]// 000000004E38: D3E00044 1D124150
	s_add_u32 m0, 0x440, m0                                    // 000000004E40: 807C7CFF 00000440
	buffer_load_dword v24, s[12:15], s60 offen lds             // 000000004E48: E0511000 3C030018
	v_mfma_f32_32x32x8_bf16 v[68:83], a[82:83], a[34:35], v[68:83]// 000000004E50: D3E00044 1D124552
	v_mfma_f32_32x32x8_bf16 v[68:83], a[84:85], a[36:37], v[68:83]// 000000004E58: D3E00044 1D124954
	s_add_u32 m0, 0x440, m0                                    // 000000004E60: 807C7CFF 00000440
	buffer_load_dword v25, s[12:15], s60 offen lds             // 000000004E68: E0511000 3C030019
	v_mfma_f32_32x32x8_bf16 v[68:83], a[86:87], a[38:39], v[68:83]// 000000004E70: D3E00044 1D124D56
	v_mfma_f32_32x32x8_bf16 v[68:83], a[88:89], a[40:41], v[68:83]// 000000004E78: D3E00044 1D125158
	s_add_u32 m0, 0x440, m0                                    // 000000004E80: 807C7CFF 00000440
	buffer_load_dword v26, s[12:15], s60 offen lds             // 000000004E88: E0511000 3C03001A
	v_mfma_f32_32x32x8_bf16 v[68:83], a[90:91], a[42:43], v[68:83]// 000000004E90: D3E00044 1D12555A
	v_mfma_f32_32x32x8_bf16 v[68:83], a[92:93], a[44:45], v[68:83]// 000000004E98: D3E00044 1D12595C
	s_add_u32 m0, 0x440, m0                                    // 000000004EA0: 807C7CFF 00000440
	buffer_load_dword v27, s[12:15], s60 offen lds             // 000000004EA8: E0511000 3C03001B
	s_nop 0                                                    // 000000004EB0: BF800000
	v_exp_f32_e32 v84, v84                                     // 000000004EB4: 7EA84154
	v_exp_f32_e32 v85, v85                                     // 000000004EB8: 7EAA4155
	v_exp_f32_e32 v86, v86                                     // 000000004EBC: 7EAC4156
	v_exp_f32_e32 v87, v87                                     // 000000004EC0: 7EAE4157
	v_exp_f32_e32 v88, v88                                     // 000000004EC4: 7EB04158
	v_exp_f32_e32 v89, v89                                     // 000000004EC8: 7EB24159
	v_exp_f32_e32 v90, v90                                     // 000000004ECC: 7EB4415A
	v_exp_f32_e32 v91, v91                                     // 000000004ED0: 7EB6415B
	v_exp_f32_e32 v92, v92                                     // 000000004ED4: 7EB8415C
	v_exp_f32_e32 v93, v93                                     // 000000004ED8: 7EBA415D
	v_exp_f32_e32 v94, v94                                     // 000000004EDC: 7EBC415E
	v_exp_f32_e32 v95, v95                                     // 000000004EE0: 7EBE415F
	v_exp_f32_e32 v96, v96                                     // 000000004EE4: 7EC04160
	v_exp_f32_e32 v97, v97                                     // 000000004EE8: 7EC24161
	v_exp_f32_e32 v98, v98                                     // 000000004EEC: 7EC44162
	v_exp_f32_e32 v99, v99                                     // 000000004EF0: 7EC64163
	v_mul_f32_e32 v46, v44, v46                                // 000000004EF4: 0A5C5D2C
	v_pk_add_f32 v[62:63], v[84:85], v[86:87]                  // 000000004EF8: D3B2403E 1802AD54
	v_pk_add_f32 v[62:63], v[88:89], v[62:63]                  // 000000004F00: D3B2403E 18027D58
	v_pk_add_f32 v[62:63], v[90:91], v[62:63]                  // 000000004F08: D3B2403E 18027D5A
	v_pk_add_f32 v[62:63], v[92:93], v[62:63]                  // 000000004F10: D3B2403E 18027D5C
	v_pk_add_f32 v[62:63], v[94:95], v[62:63]                  // 000000004F18: D3B2403E 18027D5E
	v_pk_add_f32 v[62:63], v[96:97], v[62:63]                  // 000000004F20: D3B2403E 18027D60
	v_pk_add_f32 v[62:63], v[98:99], v[62:63]                  // 000000004F28: D3B2403E 18027D62
	v_add_f32_e32 v62, v62, v63                                // 000000004F30: 027C7F3E
	v_add_f32_e32 v46, v62, v46                                // 000000004F34: 025C5D3E
	v_perm_b32 v84, v85, v84, s49                              // 000000004F38: D1ED0054 00C6A955
	v_perm_b32 v85, v87, v86, s49                              // 000000004F40: D1ED0055 00C6AD57
	v_perm_b32 v86, v89, v88, s49                              // 000000004F48: D1ED0056 00C6B159
	v_perm_b32 v87, v91, v90, s49                              // 000000004F50: D1ED0057 00C6B55B
	v_perm_b32 v88, v93, v92, s49                              // 000000004F58: D1ED0058 00C6B95D
	v_perm_b32 v89, v95, v94, s49                              // 000000004F60: D1ED0059 00C6BD5F
	v_perm_b32 v90, v97, v96, s49                              // 000000004F68: D1ED005A 00C6C161
	v_perm_b32 v91, v99, v98, s49                              // 000000004F70: D1ED005B 00C6C563
	v_mfma_f32_32x32x8_bf16 v[68:83], a[94:95], a[46:47], v[68:83]// 000000004F78: D3E00044 1D125D5E
	s_add_i32 s60, s43, s60                                    // 000000004F80: 813C3C2B
	s_cmp_lt_i32 s52, s54                                      // 000000004F84: BF043634
	s_cbranch_scc1 label_0766                                  // 000000004F88: BF850043
	s_sub_i32 s40, s7, s52                                     // 000000004F8C: 81A83407
	v_sub_i32 v40, s40, v54                                    // 000000004F90: D29D0028 00026C28
	v_cmp_lt_i32_e64 s[72:73], 0, v40                          // 000000004F98: D0C10048 00025080
	v_cmp_lt_i32_e64 s[74:75], 1, v40                          // 000000004FA0: D0C1004A 00025081
	v_cndmask_b32_e64 v68, v55, v68, s[72:73]                  // 000000004FA8: D1000044 01228937
	v_cndmask_b32_e64 v69, v55, v69, s[74:75]                  // 000000004FB0: D1000045 012A8B37
	v_cmp_lt_i32_e64 s[72:73], 2, v40                          // 000000004FB8: D0C10048 00025082
	v_cmp_lt_i32_e64 s[74:75], 3, v40                          // 000000004FC0: D0C1004A 00025083
	v_cndmask_b32_e64 v70, v55, v70, s[72:73]                  // 000000004FC8: D1000046 01228D37
	v_cndmask_b32_e64 v71, v55, v71, s[74:75]                  // 000000004FD0: D1000047 012A8F37
	v_cmp_lt_i32_e64 s[72:73], 8, v40                          // 000000004FD8: D0C10048 00025088
	v_cmp_lt_i32_e64 s[74:75], 9, v40                          // 000000004FE0: D0C1004A 00025089
	v_cndmask_b32_e64 v72, v55, v72, s[72:73]                  // 000000004FE8: D1000048 01229137
	v_cndmask_b32_e64 v73, v55, v73, s[74:75]                  // 000000004FF0: D1000049 012A9337
	v_cmp_lt_i32_e64 s[72:73], 10, v40                         // 000000004FF8: D0C10048 0002508A
	v_cmp_lt_i32_e64 s[74:75], 11, v40                         // 000000005000: D0C1004A 0002508B
	v_cndmask_b32_e64 v74, v55, v74, s[72:73]                  // 000000005008: D100004A 01229537
	v_cndmask_b32_e64 v75, v55, v75, s[74:75]                  // 000000005010: D100004B 012A9737
	v_cmp_lt_i32_e64 s[72:73], 16, v40                         // 000000005018: D0C10048 00025090
	v_cmp_lt_i32_e64 s[74:75], 17, v40                         // 000000005020: D0C1004A 00025091
	v_cndmask_b32_e64 v76, v55, v76, s[72:73]                  // 000000005028: D100004C 01229937
	v_cndmask_b32_e64 v77, v55, v77, s[74:75]                  // 000000005030: D100004D 012A9B37
	v_cmp_lt_i32_e64 s[72:73], 18, v40                         // 000000005038: D0C10048 00025092
	v_cmp_lt_i32_e64 s[74:75], 19, v40                         // 000000005040: D0C1004A 00025093
	v_cndmask_b32_e64 v78, v55, v78, s[72:73]                  // 000000005048: D100004E 01229D37
	v_cndmask_b32_e64 v79, v55, v79, s[74:75]                  // 000000005050: D100004F 012A9F37
	v_cmp_lt_i32_e64 s[72:73], 24, v40                         // 000000005058: D0C10048 00025098
	v_cmp_lt_i32_e64 s[74:75], 25, v40                         // 000000005060: D0C1004A 00025099
	v_cndmask_b32_e64 v80, v55, v80, s[72:73]                  // 000000005068: D1000050 0122A137
	v_cndmask_b32_e64 v81, v55, v81, s[74:75]                  // 000000005070: D1000051 012AA337
	v_cmp_lt_i32_e64 s[72:73], 26, v40                         // 000000005078: D0C10048 0002509A
	v_cmp_lt_i32_e64 s[74:75], 27, v40                         // 000000005080: D0C1004A 0002509B
	v_cndmask_b32_e64 v82, v55, v82, s[72:73]                  // 000000005088: D1000052 0122A537
	v_cndmask_b32_e64 v83, v55, v83, s[74:75]                  // 000000005090: D1000053 012AA737

0000000000005098 <label_0766>:
	s_waitcnt vmcnt(12) lgkmcnt(12)                            // 000000005098: BF8C0C7C
	s_barrier                                                  // 00000000509C: BF8A0000
	v_max3_f32 v49, v68, v69, v52                              // 0000000050A0: D1D30031 04D28B44
	v_max3_f32 v49, v70, v71, v49                              // 0000000050A8: D1D30031 04C68F46
	v_max3_f32 v49, v72, v73, v49                              // 0000000050B0: D1D30031 04C69348
	v_max3_f32 v49, v74, v75, v49                              // 0000000050B8: D1D30031 04C6974A
	v_max3_f32 v49, v76, v77, v49                              // 0000000050C0: D1D30031 04C69B4C
	v_max3_f32 v49, v78, v79, v49                              // 0000000050C8: D1D30031 04C69F4E
	v_max3_f32 v49, v80, v81, v49                              // 0000000050D0: D1D30031 04C6A350
	v_max3_f32 v49, v82, v83, v49                              // 0000000050D8: D1D30031 04C6A752
	v_mfma_f32_32x32x8_bf16 v[100:115], a[176:177], v[84:85], v[100:115]// 0000000050E0: D3E00064 0D92A9B0
	buffer_load_dword v164, v28, s[16:19], s35 offen           // 0000000050E8: E0501000 2304A41C
	ds_permute_b32 v48, v56, v49                               // 0000000050F0: D87C0000 30003138
	v_mfma_f32_32x32x8_bf16 v[100:115], a[178:179], v[86:87], v[100:115]// 0000000050F8: D3E00064 0D92ADB2
	v_mfma_f32_32x32x8_bf16 v[100:115], a[180:181], v[88:89], v[100:115]// 000000005100: D3E00064 0D92B1B4
	buffer_load_dword v165, v29, s[16:19], s35 offen           // 000000005108: E0501000 2304A51D
	v_perm_b32 v188, v173, v172, s50                           // 000000005110: D1ED00BC 00CB59AD
	v_perm_b32 v192, v173, v172, s49                           // 000000005118: D1ED00C0 00C759AD
	v_perm_b32 v189, v175, v174, s50                           // 000000005120: D1ED00BD 00CB5DAF
	v_perm_b32 v193, v175, v174, s49                           // 000000005128: D1ED00C1 00C75DAF
	v_perm_b32 v190, v177, v176, s50                           // 000000005130: D1ED00BE 00CB61B1
	v_perm_b32 v194, v177, v176, s49                           // 000000005138: D1ED00C2 00C761B1
	v_perm_b32 v191, v179, v178, s50                           // 000000005140: D1ED00BF 00CB65B3
	v_perm_b32 v195, v179, v178, s49                           // 000000005148: D1ED00C3 00C765B3
	v_mfma_f32_32x32x8_bf16 v[100:115], a[182:183], v[90:91], v[100:115]// 000000005150: D3E00064 0D92B5B6
	v_mfma_f32_32x32x8_bf16 v[116:131], a[184:185], v[84:85], v[116:131]// 000000005158: D3E00074 0DD2A9B8
	buffer_load_dword v166, v30, s[16:19], s35 offen           // 000000005160: E0501000 2304A61E
	v_mfma_f32_32x32x8_bf16 v[116:131], a[186:187], v[86:87], v[116:131]// 000000005168: D3E00074 0DD2ADBA
	s_waitcnt lgkmcnt(0)                                       // 000000005170: BF8CC07F
	s_nop 0                                                    // 000000005174: BF800000
	v_mfma_f32_32x32x8_bf16 v[116:131], a[188:189], v[88:89], v[116:131]// 000000005178: D3E00074 0DD2B1BC
	buffer_load_dword v167, v31, s[16:19], s35 offen           // 000000005180: E0501000 2304A71F
	ds_read_b128 a[144:147], v37 offset:26112                  // 000000005188: DBFE6600 90000025
	ds_read_b128 a[148:151], v37 offset:28160                  // 000000005190: DBFE6E00 94000025
	ds_read_b128 a[152:155], v37 offset:26368                  // 000000005198: DBFE6700 98000025
	ds_read_b128 a[156:159], v37 offset:28416                  // 0000000051A0: DBFE6F00 9C000025
	v_mfma_f32_32x32x8_bf16 v[116:131], a[190:191], v[90:91], v[116:131]// 0000000051A8: D3E00074 0DD2B5BE
	v_mfma_f32_32x32x8_bf16 v[132:147], a[192:193], v[84:85], v[132:147]// 0000000051B0: D3E00084 0E12A9C0
	buffer_load_dword v168, v32, s[16:19], s35 offen           // 0000000051B8: E0501000 2304A820
	v_mfma_f32_32x32x8_bf16 v[132:147], a[194:195], v[86:87], v[132:147]// 0000000051C0: D3E00084 0E12ADC2
	v_mfma_f32_32x32x8_bf16 v[132:147], a[196:197], v[88:89], v[132:147]// 0000000051C8: D3E00084 0E12B1C4
	buffer_load_dword v169, v33, s[16:19], s35 offen           // 0000000051D0: E0501000 2304A921
	ds_read_b128 a[160:163], v37 offset:26624                  // 0000000051D8: DBFE6800 A0000025
	ds_read_b128 a[164:167], v37 offset:28672                  // 0000000051E0: DBFE7000 A4000025
	ds_read_b128 a[168:171], v37 offset:26880                  // 0000000051E8: DBFE6900 A8000025
	ds_read_b128 a[172:175], v37 offset:28928                  // 0000000051F0: DBFE7100 AC000025
	v_mfma_f32_32x32x8_bf16 v[132:147], a[198:199], v[90:91], v[132:147]// 0000000051F8: D3E00084 0E12B5C6
	v_mfma_f32_32x32x8_bf16 v[148:163], a[200:201], v[84:85], v[148:163]// 000000005200: D3E00094 0E52A9C8
	buffer_load_dword v170, v34, s[16:19], s35 offen           // 000000005208: E0501000 2304AA22
	v_mfma_f32_32x32x8_bf16 v[148:163], a[202:203], v[86:87], v[148:163]// 000000005210: D3E00094 0E52ADCA
	v_mfma_f32_32x32x8_bf16 v[148:163], a[204:205], v[88:89], v[148:163]// 000000005218: D3E00094 0E52B1CC
	buffer_load_dword v171, v35, s[16:19], s35 offen           // 000000005220: E0501000 2304AB23
	v_max_f32_e32 v49, v48, v49                                // 000000005228: 16626330
	v_sub_f32_e32 v44, v52, v49                                // 00000000522C: 04586334
	v_mov_b32_e32 v52, v49                                     // 000000005230: 7E680331
	v_mul_f32_e32 v51, s56, v49                                // 000000005234: 0A666238
	v_mul_f32_e32 v44, s56, v44                                // 000000005238: 0A585838
	v_exp_f32_e32 v44, v44                                     // 00000000523C: 7E58412C
	v_add_f32_e64 v60, 0, -v51                                 // 000000005240: D101003C 40026680
	v_mov_b32_e32 v61, v60                                     // 000000005248: 7E7A033C
	s_nop 0                                                    // 00000000524C: BF800000
	v_pk_fma_f32 v[68:69], v[68:69], s[56:57], v[60:61]        // 000000005250: D3B04044 1CF07144
	v_pk_fma_f32 v[70:71], v[70:71], s[56:57], v[60:61]        // 000000005258: D3B04046 1CF07146
	v_pk_fma_f32 v[72:73], v[72:73], s[56:57], v[60:61]        // 000000005260: D3B04048 1CF07148
	v_pk_fma_f32 v[74:75], v[74:75], s[56:57], v[60:61]        // 000000005268: D3B0404A 1CF0714A
	v_pk_fma_f32 v[76:77], v[76:77], s[56:57], v[60:61]        // 000000005270: D3B0404C 1CF0714C
	v_pk_fma_f32 v[78:79], v[78:79], s[56:57], v[60:61]        // 000000005278: D3B0404E 1CF0714E
	v_pk_fma_f32 v[80:81], v[80:81], s[56:57], v[60:61]        // 000000005280: D3B04050 1CF07150
	v_pk_fma_f32 v[82:83], v[82:83], s[56:57], v[60:61]        // 000000005288: D3B04052 1CF07152
	v_mfma_f32_32x32x8_bf16 v[148:163], a[206:207], v[90:91], v[148:163]// 000000005290: D3E00094 0E52B5CE
	s_add_i32 s35, s44, s35                                    // 000000005298: 8123232C
	s_add_i32 s52, s52, s53                                    // 00000000529C: 81343534
	s_addk_i32 s39, 0x20                                       // 0000000052A0: B7270020
	s_cmp_lt_i32 s39, s38                                      // 0000000052A4: BF042627
	s_nop 0                                                    // 0000000052A8: BF800000
	v_mov_b32_e32 v45, v44                                     // 0000000052AC: 7E5A032C
	v_mul_f32_e32 v100, v44, v100                              // 0000000052B0: 0AC8C92C
	v_mul_f32_e32 v101, v44, v101                              // 0000000052B4: 0ACACB2C
	v_pk_mul_f32 v[102:103], v[44:45], v[102:103]              // 0000000052B8: D3B14066 1802CD2C
	v_pk_mul_f32 v[104:105], v[44:45], v[104:105]              // 0000000052C0: D3B14068 1802D12C
	v_pk_mul_f32 v[106:107], v[44:45], v[106:107]              // 0000000052C8: D3B1406A 1802D52C
	v_pk_mul_f32 v[108:109], v[44:45], v[108:109]              // 0000000052D0: D3B1406C 1802D92C
	v_pk_mul_f32 v[110:111], v[44:45], v[110:111]              // 0000000052D8: D3B1406E 1802DD2C
	v_pk_mul_f32 v[112:113], v[44:45], v[112:113]              // 0000000052E0: D3B14070 1802E12C
	v_pk_mul_f32 v[114:115], v[44:45], v[114:115]              // 0000000052E8: D3B14072 1802E52C
	v_pk_mul_f32 v[116:117], v[44:45], v[116:117]              // 0000000052F0: D3B14074 1802E92C
	v_pk_mul_f32 v[118:119], v[44:45], v[118:119]              // 0000000052F8: D3B14076 1802ED2C
	v_pk_mul_f32 v[120:121], v[44:45], v[120:121]              // 000000005300: D3B14078 1802F12C
	v_pk_mul_f32 v[122:123], v[44:45], v[122:123]              // 000000005308: D3B1407A 1802F52C
	v_pk_mul_f32 v[124:125], v[44:45], v[124:125]              // 000000005310: D3B1407C 1802F92C
	v_pk_mul_f32 v[126:127], v[44:45], v[126:127]              // 000000005318: D3B1407E 1802FD2C
	v_pk_mul_f32 v[128:129], v[44:45], v[128:129]              // 000000005320: D3B14080 1803012C
	v_pk_mul_f32 v[130:131], v[44:45], v[130:131]              // 000000005328: D3B14082 1803052C
	v_pk_mul_f32 v[132:133], v[44:45], v[132:133]              // 000000005330: D3B14084 1803092C
	v_pk_mul_f32 v[134:135], v[44:45], v[134:135]              // 000000005338: D3B14086 18030D2C
	v_pk_mul_f32 v[136:137], v[44:45], v[136:137]              // 000000005340: D3B14088 1803112C
	v_pk_mul_f32 v[138:139], v[44:45], v[138:139]              // 000000005348: D3B1408A 1803152C
	v_pk_mul_f32 v[140:141], v[44:45], v[140:141]              // 000000005350: D3B1408C 1803192C
	v_pk_mul_f32 v[142:143], v[44:45], v[142:143]              // 000000005358: D3B1408E 18031D2C
	v_pk_mul_f32 v[144:145], v[44:45], v[144:145]              // 000000005360: D3B14090 1803212C
	v_pk_mul_f32 v[146:147], v[44:45], v[146:147]              // 000000005368: D3B14092 1803252C
	v_pk_mul_f32 v[148:149], v[44:45], v[148:149]              // 000000005370: D3B14094 1803292C
	v_pk_mul_f32 v[150:151], v[44:45], v[150:151]              // 000000005378: D3B14096 18032D2C
	v_pk_mul_f32 v[152:153], v[44:45], v[152:153]              // 000000005380: D3B14098 1803312C
	v_pk_mul_f32 v[154:155], v[44:45], v[154:155]              // 000000005388: D3B1409A 1803352C
	v_pk_mul_f32 v[156:157], v[44:45], v[156:157]              // 000000005390: D3B1409C 1803392C
	v_pk_mul_f32 v[158:159], v[44:45], v[158:159]              // 000000005398: D3B1409E 18033D2C
	v_pk_mul_f32 v[160:161], v[44:45], v[160:161]              // 0000000053A0: D3B140A0 1803412C
	v_pk_mul_f32 v[162:163], v[44:45], v[162:163]              // 0000000053A8: D3B140A2 1803452C
	s_cbranch_scc0 label_0BA8                                  // 0000000053B0: BF84037B
	s_branch label_04B5                                        // 0000000053B4: BF82FC87

00000000000053b8 <label_082E>:
	s_nop 0                                                    // 0000000053B8: BF800000

00000000000053bc <label_082F>:
	s_waitcnt vmcnt(8) lgkmcnt(8)                              // 0000000053BC: BF8C0878
	s_barrier                                                  // 0000000053C0: BF8A0000
	v_mfma_f32_32x32x8_bf16 v[84:99], a[96:97], a[0:1], 0      // 0000000053C4: D3E00054 1A020160
	v_mfma_f32_32x32x8_bf16 v[84:99], a[98:99], a[2:3], v[84:99]// 0000000053CC: D3E00054 1D520562
	s_mov_b32 m0, s69                                          // 0000000053D4: BEFC0045
	buffer_load_dword v16, s[12:15], s60 offen lds             // 0000000053D8: E0511000 3C030010
	ds_write_b128 v38, v[188:191] offset:34432                 // 0000000053E0: D9BE8680 0000BC26
	v_mfma_f32_32x32x8_bf16 v[84:99], a[100:101], a[4:5], v[84:99]// 0000000053E8: D3E00054 1D520964
	v_mfma_f32_32x32x8_bf16 v[84:99], a[102:103], a[6:7], v[84:99]// 0000000053F0: D3E00054 1D520D66
	s_add_u32 m0, 0x440, m0                                    // 0000000053F8: 807C7CFF 00000440
	buffer_load_dword v17, s[12:15], s60 offen lds             // 000000005400: E0511000 3C030011
	ds_write_b128 v38, v[192:195] offset:38592                 // 000000005408: D9BE96C0 0000C026
	v_mfma_f32_32x32x8_bf16 v[84:99], a[104:105], a[8:9], v[84:99]// 000000005410: D3E00054 1D521168
	v_mfma_f32_32x32x8_bf16 v[84:99], a[106:107], a[10:11], v[84:99]// 000000005418: D3E00054 1D52156A
	s_add_u32 m0, 0x440, m0                                    // 000000005420: 807C7CFF 00000440
	buffer_load_dword v18, s[12:15], s60 offen lds             // 000000005428: E0511000 3C030012
	ds_read_b128 a[48:51], v36                                 // 000000005430: DBFE0000 30000024
	ds_read_b128 a[52:55], v36 offset:32                       // 000000005438: DBFE0020 34000024
	v_mfma_f32_32x32x8_bf16 v[84:99], a[108:109], a[12:13], v[84:99]// 000000005440: D3E00054 1D52196C
	v_mfma_f32_32x32x8_bf16 v[84:99], a[110:111], a[14:15], v[84:99]// 000000005448: D3E00054 1D521D6E
	s_add_u32 m0, 0x440, m0                                    // 000000005450: 807C7CFF 00000440
	buffer_load_dword v19, s[12:15], s60 offen lds             // 000000005458: E0511000 3C030013
	ds_read_b128 a[56:59], v36 offset:64                       // 000000005460: DBFE0040 38000024
	ds_read_b128 a[60:63], v36 offset:96                       // 000000005468: DBFE0060 3C000024
	v_mfma_f32_32x32x8_bf16 v[84:99], a[112:113], a[16:17], v[84:99]// 000000005470: D3E00054 1D522170
	v_mfma_f32_32x32x8_bf16 v[84:99], a[114:115], a[18:19], v[84:99]// 000000005478: D3E00054 1D522572
	s_add_u32 m0, 0x440, m0                                    // 000000005480: 807C7CFF 00000440
	buffer_load_dword v20, s[12:15], s60 offen lds             // 000000005488: E0511000 3C030014
	ds_read_b128 a[64:67], v36 offset:4352                     // 000000005490: DBFE1100 40000024
	ds_read_b128 a[68:71], v36 offset:4384                     // 000000005498: DBFE1120 44000024
	v_mfma_f32_32x32x8_bf16 v[84:99], a[116:117], a[20:21], v[84:99]// 0000000054A0: D3E00054 1D522974
	v_mfma_f32_32x32x8_bf16 v[84:99], a[118:119], a[22:23], v[84:99]// 0000000054A8: D3E00054 1D522D76
	s_add_u32 m0, 0x440, m0                                    // 0000000054B0: 807C7CFF 00000440
	buffer_load_dword v21, s[12:15], s60 offen lds             // 0000000054B8: E0511000 3C030015
	ds_read_b128 a[72:75], v36 offset:4416                     // 0000000054C0: DBFE1140 48000024
	ds_read_b128 a[76:79], v36 offset:4448                     // 0000000054C8: DBFE1160 4C000024
	v_mfma_f32_32x32x8_bf16 v[84:99], a[120:121], a[24:25], v[84:99]// 0000000054D0: D3E00054 1D523178
	v_mfma_f32_32x32x8_bf16 v[84:99], a[122:123], a[26:27], v[84:99]// 0000000054D8: D3E00054 1D52357A
	s_add_u32 m0, 0x440, m0                                    // 0000000054E0: 807C7CFF 00000440
	buffer_load_dword v22, s[12:15], s60 offen lds             // 0000000054E8: E0511000 3C030016
	ds_read_b128 a[80:83], v36 offset:8704                     // 0000000054F0: DBFE2200 50000024
	ds_read_b128 a[84:87], v36 offset:8736                     // 0000000054F8: DBFE2220 54000024
	v_mfma_f32_32x32x8_bf16 v[84:99], a[124:125], a[28:29], v[84:99]// 000000005500: D3E00054 1D52397C
	v_mfma_f32_32x32x8_bf16 v[84:99], a[126:127], a[30:31], v[84:99]// 000000005508: D3E00054 1D523D7E
	s_add_u32 m0, 0x440, m0                                    // 000000005510: 807C7CFF 00000440
	buffer_load_dword v23, s[12:15], s60 offen lds             // 000000005518: E0511000 3C030017
	ds_read_b128 a[88:91], v36 offset:8768                     // 000000005520: DBFE2240 58000024
	ds_read_b128 a[92:95], v36 offset:8800                     // 000000005528: DBFE2260 5C000024
	v_mfma_f32_32x32x8_bf16 v[84:99], a[128:129], a[32:33], v[84:99]// 000000005530: D3E00054 1D524180
	v_mfma_f32_32x32x8_bf16 v[84:99], a[130:131], a[34:35], v[84:99]// 000000005538: D3E00054 1D524582
	s_add_u32 m0, 0x440, m0                                    // 000000005540: 807C7CFF 00000440
	buffer_load_dword v24, s[12:15], s60 offen lds             // 000000005548: E0511000 3C030018
	v_mfma_f32_32x32x8_bf16 v[84:99], a[132:133], a[36:37], v[84:99]// 000000005550: D3E00054 1D524984
	v_mfma_f32_32x32x8_bf16 v[84:99], a[134:135], a[38:39], v[84:99]// 000000005558: D3E00054 1D524D86
	s_add_u32 m0, 0x440, m0                                    // 000000005560: 807C7CFF 00000440
	buffer_load_dword v25, s[12:15], s60 offen lds             // 000000005568: E0511000 3C030019
	v_mfma_f32_32x32x8_bf16 v[84:99], a[136:137], a[40:41], v[84:99]// 000000005570: D3E00054 1D525188
	v_mfma_f32_32x32x8_bf16 v[84:99], a[138:139], a[42:43], v[84:99]// 000000005578: D3E00054 1D52558A
	s_add_u32 m0, 0x440, m0                                    // 000000005580: 807C7CFF 00000440
	buffer_load_dword v26, s[12:15], s60 offen lds             // 000000005588: E0511000 3C03001A
	v_mfma_f32_32x32x8_bf16 v[84:99], a[140:141], a[44:45], v[84:99]// 000000005590: D3E00054 1D52598C
	s_nop 0                                                    // 000000005598: BF800000
	v_exp_f32_e32 v68, v68                                     // 00000000559C: 7E884144
	v_exp_f32_e32 v69, v69                                     // 0000000055A0: 7E8A4145
	v_exp_f32_e32 v70, v70                                     // 0000000055A4: 7E8C4146
	v_exp_f32_e32 v71, v71                                     // 0000000055A8: 7E8E4147
	v_exp_f32_e32 v72, v72                                     // 0000000055AC: 7E904148
	v_exp_f32_e32 v73, v73                                     // 0000000055B0: 7E924149
	v_exp_f32_e32 v74, v74                                     // 0000000055B4: 7E94414A
	v_exp_f32_e32 v75, v75                                     // 0000000055B8: 7E96414B
	v_exp_f32_e32 v76, v76                                     // 0000000055BC: 7E98414C
	v_exp_f32_e32 v77, v77                                     // 0000000055C0: 7E9A414D
	v_exp_f32_e32 v78, v78                                     // 0000000055C4: 7E9C414E
	v_exp_f32_e32 v79, v79                                     // 0000000055C8: 7E9E414F
	v_exp_f32_e32 v80, v80                                     // 0000000055CC: 7EA04150
	v_exp_f32_e32 v81, v81                                     // 0000000055D0: 7EA24151
	v_exp_f32_e32 v82, v82                                     // 0000000055D4: 7EA44152
	v_exp_f32_e32 v83, v83                                     // 0000000055D8: 7EA64153
	v_mul_f32_e32 v46, v44, v46                                // 0000000055DC: 0A5C5D2C
	v_pk_add_f32 v[62:63], v[68:69], v[70:71]                  // 0000000055E0: D3B2403E 18028D44
	v_pk_add_f32 v[62:63], v[72:73], v[62:63]                  // 0000000055E8: D3B2403E 18027D48
	v_pk_add_f32 v[62:63], v[74:75], v[62:63]                  // 0000000055F0: D3B2403E 18027D4A
	v_pk_add_f32 v[62:63], v[76:77], v[62:63]                  // 0000000055F8: D3B2403E 18027D4C
	v_pk_add_f32 v[62:63], v[78:79], v[62:63]                  // 000000005600: D3B2403E 18027D4E
	v_pk_add_f32 v[62:63], v[80:81], v[62:63]                  // 000000005608: D3B2403E 18027D50
	v_pk_add_f32 v[62:63], v[82:83], v[62:63]                  // 000000005610: D3B2403E 18027D52
	v_add_f32_e32 v62, v62, v63                                // 000000005618: 027C7F3E
	v_add_f32_e32 v46, v62, v46                                // 00000000561C: 025C5D3E
	v_perm_b32 v68, v69, v68, s49                              // 000000005620: D1ED0044 00C68945
	v_perm_b32 v69, v71, v70, s49                              // 000000005628: D1ED0045 00C68D47
	v_perm_b32 v70, v73, v72, s49                              // 000000005630: D1ED0046 00C69149
	v_perm_b32 v71, v75, v74, s49                              // 000000005638: D1ED0047 00C6954B
	v_perm_b32 v72, v77, v76, s49                              // 000000005640: D1ED0048 00C6994D
	v_perm_b32 v73, v79, v78, s49                              // 000000005648: D1ED0049 00C69D4F
	v_perm_b32 v74, v81, v80, s49                              // 000000005650: D1ED004A 00C6A151
	v_perm_b32 v75, v83, v82, s49                              // 000000005658: D1ED004B 00C6A553
	v_mfma_f32_32x32x8_bf16 v[84:99], a[142:143], a[46:47], v[84:99]// 000000005660: D3E00054 1D525D8E
	s_add_u32 m0, 0x440, m0                                    // 000000005668: 807C7CFF 00000440
	buffer_load_dword v27, s[12:15], s60 offen lds             // 000000005670: E0511000 3C03001B
	s_add_i32 s60, s43, s60                                    // 000000005678: 813C3C2B
	s_cmp_lt_i32 s52, s54                                      // 00000000567C: BF043634
	s_cbranch_scc1 label_0924                                  // 000000005680: BF850043
	s_sub_i32 s40, s7, s52                                     // 000000005684: 81A83407
	v_sub_i32 v40, s40, v54                                    // 000000005688: D29D0028 00026C28
	v_cmp_lt_i32_e64 s[72:73], 0, v40                          // 000000005690: D0C10048 00025080
	v_cmp_lt_i32_e64 s[74:75], 1, v40                          // 000000005698: D0C1004A 00025081
	v_cndmask_b32_e64 v84, v55, v84, s[72:73]                  // 0000000056A0: D1000054 0122A937
	v_cndmask_b32_e64 v85, v55, v85, s[74:75]                  // 0000000056A8: D1000055 012AAB37
	v_cmp_lt_i32_e64 s[72:73], 2, v40                          // 0000000056B0: D0C10048 00025082
	v_cmp_lt_i32_e64 s[74:75], 3, v40                          // 0000000056B8: D0C1004A 00025083
	v_cndmask_b32_e64 v86, v55, v86, s[72:73]                  // 0000000056C0: D1000056 0122AD37
	v_cndmask_b32_e64 v87, v55, v87, s[74:75]                  // 0000000056C8: D1000057 012AAF37
	v_cmp_lt_i32_e64 s[72:73], 8, v40                          // 0000000056D0: D0C10048 00025088
	v_cmp_lt_i32_e64 s[74:75], 9, v40                          // 0000000056D8: D0C1004A 00025089
	v_cndmask_b32_e64 v88, v55, v88, s[72:73]                  // 0000000056E0: D1000058 0122B137
	v_cndmask_b32_e64 v89, v55, v89, s[74:75]                  // 0000000056E8: D1000059 012AB337
	v_cmp_lt_i32_e64 s[72:73], 10, v40                         // 0000000056F0: D0C10048 0002508A
	v_cmp_lt_i32_e64 s[74:75], 11, v40                         // 0000000056F8: D0C1004A 0002508B
	v_cndmask_b32_e64 v90, v55, v90, s[72:73]                  // 000000005700: D100005A 0122B537
	v_cndmask_b32_e64 v91, v55, v91, s[74:75]                  // 000000005708: D100005B 012AB737
	v_cmp_lt_i32_e64 s[72:73], 16, v40                         // 000000005710: D0C10048 00025090
	v_cmp_lt_i32_e64 s[74:75], 17, v40                         // 000000005718: D0C1004A 00025091
	v_cndmask_b32_e64 v92, v55, v92, s[72:73]                  // 000000005720: D100005C 0122B937
	v_cndmask_b32_e64 v93, v55, v93, s[74:75]                  // 000000005728: D100005D 012ABB37
	v_cmp_lt_i32_e64 s[72:73], 18, v40                         // 000000005730: D0C10048 00025092
	v_cmp_lt_i32_e64 s[74:75], 19, v40                         // 000000005738: D0C1004A 00025093
	v_cndmask_b32_e64 v94, v55, v94, s[72:73]                  // 000000005740: D100005E 0122BD37
	v_cndmask_b32_e64 v95, v55, v95, s[74:75]                  // 000000005748: D100005F 012ABF37
	v_cmp_lt_i32_e64 s[72:73], 24, v40                         // 000000005750: D0C10048 00025098
	v_cmp_lt_i32_e64 s[74:75], 25, v40                         // 000000005758: D0C1004A 00025099
	v_cndmask_b32_e64 v96, v55, v96, s[72:73]                  // 000000005760: D1000060 0122C137
	v_cndmask_b32_e64 v97, v55, v97, s[74:75]                  // 000000005768: D1000061 012AC337
	v_cmp_lt_i32_e64 s[72:73], 26, v40                         // 000000005770: D0C10048 0002509A
	v_cmp_lt_i32_e64 s[74:75], 27, v40                         // 000000005778: D0C1004A 0002509B
	v_cndmask_b32_e64 v98, v55, v98, s[72:73]                  // 000000005780: D1000062 0122C537
	v_cndmask_b32_e64 v99, v55, v99, s[74:75]                  // 000000005788: D1000063 012AC737

0000000000005790 <label_0924>:
	s_waitcnt vmcnt(12) lgkmcnt(12)                            // 000000005790: BF8C0C7C
	s_barrier                                                  // 000000005794: BF8A0000
	v_max3_f32 v49, v84, v85, v52                              // 000000005798: D1D30031 04D2AB54
	v_max3_f32 v49, v86, v87, v49                              // 0000000057A0: D1D30031 04C6AF56
	v_max3_f32 v49, v88, v89, v49                              // 0000000057A8: D1D30031 04C6B358
	v_max3_f32 v49, v90, v91, v49                              // 0000000057B0: D1D30031 04C6B75A
	v_max3_f32 v49, v92, v93, v49                              // 0000000057B8: D1D30031 04C6BB5C
	v_max3_f32 v49, v94, v95, v49                              // 0000000057C0: D1D30031 04C6BF5E
	v_max3_f32 v49, v96, v97, v49                              // 0000000057C8: D1D30031 04C6C360
	v_max3_f32 v49, v98, v99, v49                              // 0000000057D0: D1D30031 04C6C762
	v_mfma_f32_32x32x8_bf16 v[100:115], a[144:145], v[68:69], v[100:115]// 0000000057D8: D3E00064 0D928990
	ds_permute_b32 v48, v56, v49                               // 0000000057E0: D87C0000 30003138
	v_mfma_f32_32x32x8_bf16 v[100:115], a[146:147], v[70:71], v[100:115]// 0000000057E8: D3E00064 0D928D92
	buffer_load_dword v172, v28, s[16:19], s35 offen           // 0000000057F0: E0501000 2304AC1C
	v_mfma_f32_32x32x8_bf16 v[100:115], a[148:149], v[72:73], v[100:115]// 0000000057F8: D3E00064 0D929194
	v_perm_b32 v180, v165, v164, s50                           // 000000005800: D1ED00B4 00CB49A5
	v_perm_b32 v184, v165, v164, s49                           // 000000005808: D1ED00B8 00C749A5
	v_perm_b32 v181, v167, v166, s50                           // 000000005810: D1ED00B5 00CB4DA7
	v_perm_b32 v185, v167, v166, s49                           // 000000005818: D1ED00B9 00C74DA7
	v_perm_b32 v182, v169, v168, s50                           // 000000005820: D1ED00B6 00CB51A9
	v_perm_b32 v186, v169, v168, s49                           // 000000005828: D1ED00BA 00C751A9
	v_perm_b32 v183, v171, v170, s50                           // 000000005830: D1ED00B7 00CB55AB
	v_perm_b32 v187, v171, v170, s49                           // 000000005838: D1ED00BB 00C755AB
	v_mfma_f32_32x32x8_bf16 v[100:115], a[150:151], v[74:75], v[100:115]// 000000005840: D3E00064 0D929596
	buffer_load_dword v173, v29, s[16:19], s35 offen           // 000000005848: E0501000 2304AD1D
	v_mfma_f32_32x32x8_bf16 v[116:131], a[152:153], v[68:69], v[116:131]// 000000005850: D3E00074 0DD28998
	v_mfma_f32_32x32x8_bf16 v[116:131], a[154:155], v[70:71], v[116:131]// 000000005858: D3E00074 0DD28D9A
	buffer_load_dword v174, v30, s[16:19], s35 offen           // 000000005860: E0501000 2304AE1E
	s_waitcnt lgkmcnt(0)                                       // 000000005868: BF8CC07F
	s_nop 0                                                    // 00000000586C: BF800000
	v_mfma_f32_32x32x8_bf16 v[116:131], a[156:157], v[72:73], v[116:131]// 000000005870: D3E00074 0DD2919C
	v_mfma_f32_32x32x8_bf16 v[116:131], a[158:159], v[74:75], v[116:131]// 000000005878: D3E00074 0DD2959E
	buffer_load_dword v175, v31, s[16:19], s35 offen           // 000000005880: E0501000 2304AF1F
	ds_read_b128 a[176:179], v37 offset:34432                  // 000000005888: DBFE8680 B0000025
	ds_read_b128 a[180:183], v37 offset:36480                  // 000000005890: DBFE8E80 B4000025
	ds_read_b128 a[184:187], v37 offset:34688                  // 000000005898: DBFE8780 B8000025
	ds_read_b128 a[188:191], v37 offset:36736                  // 0000000058A0: DBFE8F80 BC000025
	v_mfma_f32_32x32x8_bf16 v[132:147], a[160:161], v[68:69], v[132:147]// 0000000058A8: D3E00084 0E1289A0
	v_mfma_f32_32x32x8_bf16 v[132:147], a[162:163], v[70:71], v[132:147]// 0000000058B0: D3E00084 0E128DA2
	buffer_load_dword v176, v32, s[16:19], s35 offen           // 0000000058B8: E0501000 2304B020
	v_mfma_f32_32x32x8_bf16 v[132:147], a[164:165], v[72:73], v[132:147]// 0000000058C0: D3E00084 0E1291A4
	v_mfma_f32_32x32x8_bf16 v[132:147], a[166:167], v[74:75], v[132:147]// 0000000058C8: D3E00084 0E1295A6
	buffer_load_dword v177, v33, s[16:19], s35 offen           // 0000000058D0: E0501000 2304B121
	ds_read_b128 a[192:195], v37 offset:34944                  // 0000000058D8: DBFE8880 C0000025
	ds_read_b128 a[196:199], v37 offset:36992                  // 0000000058E0: DBFE9080 C4000025
	ds_read_b128 a[200:203], v37 offset:35200                  // 0000000058E8: DBFE8980 C8000025
	ds_read_b128 a[204:207], v37 offset:37248                  // 0000000058F0: DBFE9180 CC000025
	v_mfma_f32_32x32x8_bf16 v[148:163], a[168:169], v[68:69], v[148:163]// 0000000058F8: D3E00094 0E5289A8
	v_mfma_f32_32x32x8_bf16 v[148:163], a[170:171], v[70:71], v[148:163]// 000000005900: D3E00094 0E528DAA
	buffer_load_dword v178, v34, s[16:19], s35 offen           // 000000005908: E0501000 2304B222
	v_mfma_f32_32x32x8_bf16 v[148:163], a[172:173], v[72:73], v[148:163]// 000000005910: D3E00094 0E5291AC
	v_max_f32_e32 v49, v48, v49                                // 000000005918: 16626330
	v_sub_f32_e32 v44, v52, v49                                // 00000000591C: 04586334
	v_mov_b32_e32 v52, v49                                     // 000000005920: 7E680331
	v_mul_f32_e32 v51, s56, v49                                // 000000005924: 0A666238
	v_mul_f32_e32 v44, s56, v44                                // 000000005928: 0A585838
	v_exp_f32_e32 v44, v44                                     // 00000000592C: 7E58412C
	v_add_f32_e64 v60, 0, -v51                                 // 000000005930: D101003C 40026680
	v_mov_b32_e32 v61, v60                                     // 000000005938: 7E7A033C
	s_nop 0                                                    // 00000000593C: BF800000
	v_pk_fma_f32 v[84:85], v[84:85], s[56:57], v[60:61]        // 000000005940: D3B04054 1CF07154
	v_pk_fma_f32 v[86:87], v[86:87], s[56:57], v[60:61]        // 000000005948: D3B04056 1CF07156
	v_pk_fma_f32 v[88:89], v[88:89], s[56:57], v[60:61]        // 000000005950: D3B04058 1CF07158
	v_pk_fma_f32 v[90:91], v[90:91], s[56:57], v[60:61]        // 000000005958: D3B0405A 1CF0715A
	v_pk_fma_f32 v[92:93], v[92:93], s[56:57], v[60:61]        // 000000005960: D3B0405C 1CF0715C
	v_pk_fma_f32 v[94:95], v[94:95], s[56:57], v[60:61]        // 000000005968: D3B0405E 1CF0715E
	v_pk_fma_f32 v[96:97], v[96:97], s[56:57], v[60:61]        // 000000005970: D3B04060 1CF07160
	v_pk_fma_f32 v[98:99], v[98:99], s[56:57], v[60:61]        // 000000005978: D3B04062 1CF07162
	v_mfma_f32_32x32x8_bf16 v[148:163], a[174:175], v[74:75], v[148:163]// 000000005980: D3E00094 0E5295AE
	buffer_load_dword v179, v35, s[16:19], s35 offen           // 000000005988: E0501000 2304B323
	s_add_i32 s35, s44, s35                                    // 000000005990: 8123232C
	s_add_i32 s52, s52, s53                                    // 000000005994: 81343534
	s_addk_i32 s39, 0x20                                       // 000000005998: B7270020
	s_cmp_lt_i32 s39, s38                                      // 00000000599C: BF042627
	s_nop 0                                                    // 0000000059A0: BF800000
	v_mov_b32_e32 v45, v44                                     // 0000000059A4: 7E5A032C
	v_mul_f32_e32 v100, v44, v100                              // 0000000059A8: 0AC8C92C
	v_mul_f32_e32 v101, v44, v101                              // 0000000059AC: 0ACACB2C
	v_pk_mul_f32 v[102:103], v[44:45], v[102:103]              // 0000000059B0: D3B14066 1802CD2C
	v_pk_mul_f32 v[104:105], v[44:45], v[104:105]              // 0000000059B8: D3B14068 1802D12C
	v_pk_mul_f32 v[106:107], v[44:45], v[106:107]              // 0000000059C0: D3B1406A 1802D52C
	v_pk_mul_f32 v[108:109], v[44:45], v[108:109]              // 0000000059C8: D3B1406C 1802D92C
	v_pk_mul_f32 v[110:111], v[44:45], v[110:111]              // 0000000059D0: D3B1406E 1802DD2C
	v_pk_mul_f32 v[112:113], v[44:45], v[112:113]              // 0000000059D8: D3B14070 1802E12C
	v_pk_mul_f32 v[114:115], v[44:45], v[114:115]              // 0000000059E0: D3B14072 1802E52C
	v_pk_mul_f32 v[116:117], v[44:45], v[116:117]              // 0000000059E8: D3B14074 1802E92C
	v_pk_mul_f32 v[118:119], v[44:45], v[118:119]              // 0000000059F0: D3B14076 1802ED2C
	v_pk_mul_f32 v[120:121], v[44:45], v[120:121]              // 0000000059F8: D3B14078 1802F12C
	v_pk_mul_f32 v[122:123], v[44:45], v[122:123]              // 000000005A00: D3B1407A 1802F52C
	v_pk_mul_f32 v[124:125], v[44:45], v[124:125]              // 000000005A08: D3B1407C 1802F92C
	v_pk_mul_f32 v[126:127], v[44:45], v[126:127]              // 000000005A10: D3B1407E 1802FD2C
	v_pk_mul_f32 v[128:129], v[44:45], v[128:129]              // 000000005A18: D3B14080 1803012C
	v_pk_mul_f32 v[130:131], v[44:45], v[130:131]              // 000000005A20: D3B14082 1803052C
	v_pk_mul_f32 v[132:133], v[44:45], v[132:133]              // 000000005A28: D3B14084 1803092C
	v_pk_mul_f32 v[134:135], v[44:45], v[134:135]              // 000000005A30: D3B14086 18030D2C
	v_pk_mul_f32 v[136:137], v[44:45], v[136:137]              // 000000005A38: D3B14088 1803112C
	v_pk_mul_f32 v[138:139], v[44:45], v[138:139]              // 000000005A40: D3B1408A 1803152C
	v_pk_mul_f32 v[140:141], v[44:45], v[140:141]              // 000000005A48: D3B1408C 1803192C
	v_pk_mul_f32 v[142:143], v[44:45], v[142:143]              // 000000005A50: D3B1408E 18031D2C
	v_pk_mul_f32 v[144:145], v[44:45], v[144:145]              // 000000005A58: D3B14090 1803212C
	v_pk_mul_f32 v[146:147], v[44:45], v[146:147]              // 000000005A60: D3B14092 1803252C
	v_pk_mul_f32 v[148:149], v[44:45], v[148:149]              // 000000005A68: D3B14094 1803292C
	v_pk_mul_f32 v[150:151], v[44:45], v[150:151]              // 000000005A70: D3B14096 18032D2C
	v_pk_mul_f32 v[152:153], v[44:45], v[152:153]              // 000000005A78: D3B14098 1803312C
	v_pk_mul_f32 v[154:155], v[44:45], v[154:155]              // 000000005A80: D3B1409A 1803352C
	v_pk_mul_f32 v[156:157], v[44:45], v[156:157]              // 000000005A88: D3B1409C 1803392C
	v_pk_mul_f32 v[158:159], v[44:45], v[158:159]              // 000000005A90: D3B1409E 18033D2C
	v_pk_mul_f32 v[160:161], v[44:45], v[160:161]              // 000000005A98: D3B140A0 1803412C
	v_pk_mul_f32 v[162:163], v[44:45], v[162:163]              // 000000005AA0: D3B140A2 1803452C
	s_cbranch_scc0 label_0BA8                                  // 000000005AA8: BF8401BD
	s_waitcnt vmcnt(8) lgkmcnt(8)                              // 000000005AAC: BF8C0878
	s_barrier                                                  // 000000005AB0: BF8A0000
	v_mfma_f32_32x32x8_bf16 v[68:83], a[48:49], a[0:1], 0      // 000000005AB4: D3E00044 1A020130
	v_mfma_f32_32x32x8_bf16 v[68:83], a[50:51], a[2:3], v[68:83]// 000000005ABC: D3E00044 1D120532
	s_mov_b32 m0, s68                                          // 000000005AC4: BEFC0044
	buffer_load_dword v16, s[12:15], s60 offen lds             // 000000005AC8: E0511000 3C030010
	ds_write_b128 v38, v[180:183] offset:26112                 // 000000005AD0: D9BE6600 0000B426
	v_mfma_f32_32x32x8_bf16 v[68:83], a[52:53], a[4:5], v[68:83]// 000000005AD8: D3E00044 1D120934
	v_mfma_f32_32x32x8_bf16 v[68:83], a[54:55], a[6:7], v[68:83]// 000000005AE0: D3E00044 1D120D36
	s_add_u32 m0, 0x440, m0                                    // 000000005AE8: 807C7CFF 00000440
	buffer_load_dword v17, s[12:15], s60 offen lds             // 000000005AF0: E0511000 3C030011
	ds_write_b128 v38, v[184:187] offset:30272                 // 000000005AF8: D9BE7640 0000B826
	v_mfma_f32_32x32x8_bf16 v[68:83], a[56:57], a[8:9], v[68:83]// 000000005B00: D3E00044 1D121138
	v_mfma_f32_32x32x8_bf16 v[68:83], a[58:59], a[10:11], v[68:83]// 000000005B08: D3E00044 1D12153A
	s_add_u32 m0, 0x440, m0                                    // 000000005B10: 807C7CFF 00000440
	buffer_load_dword v18, s[12:15], s60 offen lds             // 000000005B18: E0511000 3C030012
	ds_read_b128 a[96:99], v36 offset:13056                    // 000000005B20: DBFE3300 60000024
	ds_read_b128 a[100:103], v36 offset:13088                  // 000000005B28: DBFE3320 64000024
	v_mfma_f32_32x32x8_bf16 v[68:83], a[60:61], a[12:13], v[68:83]// 000000005B30: D3E00044 1D12193C
	v_mfma_f32_32x32x8_bf16 v[68:83], a[62:63], a[14:15], v[68:83]// 000000005B38: D3E00044 1D121D3E
	s_add_u32 m0, 0x440, m0                                    // 000000005B40: 807C7CFF 00000440
	buffer_load_dword v19, s[12:15], s60 offen lds             // 000000005B48: E0511000 3C030013
	ds_read_b128 a[104:107], v36 offset:13120                  // 000000005B50: DBFE3340 68000024
	ds_read_b128 a[108:111], v36 offset:13152                  // 000000005B58: DBFE3360 6C000024
	v_mfma_f32_32x32x8_bf16 v[68:83], a[64:65], a[16:17], v[68:83]// 000000005B60: D3E00044 1D122140
	v_mfma_f32_32x32x8_bf16 v[68:83], a[66:67], a[18:19], v[68:83]// 000000005B68: D3E00044 1D122542
	s_add_u32 m0, 0x440, m0                                    // 000000005B70: 807C7CFF 00000440
	buffer_load_dword v20, s[12:15], s60 offen lds             // 000000005B78: E0511000 3C030014
	ds_read_b128 a[112:115], v36 offset:17408                  // 000000005B80: DBFE4400 70000024
	ds_read_b128 a[116:119], v36 offset:17440                  // 000000005B88: DBFE4420 74000024
	v_mfma_f32_32x32x8_bf16 v[68:83], a[68:69], a[20:21], v[68:83]// 000000005B90: D3E00044 1D122944
	v_mfma_f32_32x32x8_bf16 v[68:83], a[70:71], a[22:23], v[68:83]// 000000005B98: D3E00044 1D122D46
	s_add_u32 m0, 0x440, m0                                    // 000000005BA0: 807C7CFF 00000440
	buffer_load_dword v21, s[12:15], s60 offen lds             // 000000005BA8: E0511000 3C030015
	ds_read_b128 a[120:123], v36 offset:17472                  // 000000005BB0: DBFE4440 78000024
	ds_read_b128 a[124:127], v36 offset:17504                  // 000000005BB8: DBFE4460 7C000024
	v_mfma_f32_32x32x8_bf16 v[68:83], a[72:73], a[24:25], v[68:83]// 000000005BC0: D3E00044 1D123148
	v_mfma_f32_32x32x8_bf16 v[68:83], a[74:75], a[26:27], v[68:83]// 000000005BC8: D3E00044 1D12354A
	s_add_u32 m0, 0x440, m0                                    // 000000005BD0: 807C7CFF 00000440
	buffer_load_dword v22, s[12:15], s60 offen lds             // 000000005BD8: E0511000 3C030016
	ds_read_b128 a[128:131], v36 offset:21760                  // 000000005BE0: DBFE5500 80000024
	ds_read_b128 a[132:135], v36 offset:21792                  // 000000005BE8: DBFE5520 84000024
	v_mfma_f32_32x32x8_bf16 v[68:83], a[76:77], a[28:29], v[68:83]// 000000005BF0: D3E00044 1D12394C
	v_mfma_f32_32x32x8_bf16 v[68:83], a[78:79], a[30:31], v[68:83]// 000000005BF8: D3E00044 1D123D4E
	s_add_u32 m0, 0x440, m0                                    // 000000005C00: 807C7CFF 00000440
	buffer_load_dword v23, s[12:15], s60 offen lds             // 000000005C08: E0511000 3C030017
	ds_read_b128 a[136:139], v36 offset:21824                  // 000000005C10: DBFE5540 88000024
	ds_read_b128 a[140:143], v36 offset:21856                  // 000000005C18: DBFE5560 8C000024
	v_mfma_f32_32x32x8_bf16 v[68:83], a[80:81], a[32:33], v[68:83]// 000000005C20: D3E00044 1D124150
	v_mfma_f32_32x32x8_bf16 v[68:83], a[82:83], a[34:35], v[68:83]// 000000005C28: D3E00044 1D124552
	s_add_u32 m0, 0x440, m0                                    // 000000005C30: 807C7CFF 00000440
	buffer_load_dword v24, s[12:15], s60 offen lds             // 000000005C38: E0511000 3C030018
	v_mfma_f32_32x32x8_bf16 v[68:83], a[84:85], a[36:37], v[68:83]// 000000005C40: D3E00044 1D124954
	v_mfma_f32_32x32x8_bf16 v[68:83], a[86:87], a[38:39], v[68:83]// 000000005C48: D3E00044 1D124D56
	s_add_u32 m0, 0x440, m0                                    // 000000005C50: 807C7CFF 00000440
	buffer_load_dword v25, s[12:15], s60 offen lds             // 000000005C58: E0511000 3C030019
	v_mfma_f32_32x32x8_bf16 v[68:83], a[88:89], a[40:41], v[68:83]// 000000005C60: D3E00044 1D125158
	v_mfma_f32_32x32x8_bf16 v[68:83], a[90:91], a[42:43], v[68:83]// 000000005C68: D3E00044 1D12555A
	s_add_u32 m0, 0x440, m0                                    // 000000005C70: 807C7CFF 00000440
	buffer_load_dword v26, s[12:15], s60 offen lds             // 000000005C78: E0511000 3C03001A
	v_mfma_f32_32x32x8_bf16 v[68:83], a[92:93], a[44:45], v[68:83]// 000000005C80: D3E00044 1D12595C
	s_nop 0                                                    // 000000005C88: BF800000
	v_exp_f32_e32 v84, v84                                     // 000000005C8C: 7EA84154
	v_exp_f32_e32 v85, v85                                     // 000000005C90: 7EAA4155
	v_exp_f32_e32 v86, v86                                     // 000000005C94: 7EAC4156
	v_exp_f32_e32 v87, v87                                     // 000000005C98: 7EAE4157
	v_exp_f32_e32 v88, v88                                     // 000000005C9C: 7EB04158
	v_exp_f32_e32 v89, v89                                     // 000000005CA0: 7EB24159
	v_exp_f32_e32 v90, v90                                     // 000000005CA4: 7EB4415A
	v_exp_f32_e32 v91, v91                                     // 000000005CA8: 7EB6415B
	v_exp_f32_e32 v92, v92                                     // 000000005CAC: 7EB8415C
	v_exp_f32_e32 v93, v93                                     // 000000005CB0: 7EBA415D
	v_exp_f32_e32 v94, v94                                     // 000000005CB4: 7EBC415E
	v_exp_f32_e32 v95, v95                                     // 000000005CB8: 7EBE415F
	v_exp_f32_e32 v96, v96                                     // 000000005CBC: 7EC04160
	v_exp_f32_e32 v97, v97                                     // 000000005CC0: 7EC24161
	v_exp_f32_e32 v98, v98                                     // 000000005CC4: 7EC44162
	v_exp_f32_e32 v99, v99                                     // 000000005CC8: 7EC64163
	v_mul_f32_e32 v46, v44, v46                                // 000000005CCC: 0A5C5D2C
	v_pk_add_f32 v[62:63], v[84:85], v[86:87]                  // 000000005CD0: D3B2403E 1802AD54
	v_pk_add_f32 v[62:63], v[88:89], v[62:63]                  // 000000005CD8: D3B2403E 18027D58
	v_pk_add_f32 v[62:63], v[90:91], v[62:63]                  // 000000005CE0: D3B2403E 18027D5A
	v_pk_add_f32 v[62:63], v[92:93], v[62:63]                  // 000000005CE8: D3B2403E 18027D5C
	v_pk_add_f32 v[62:63], v[94:95], v[62:63]                  // 000000005CF0: D3B2403E 18027D5E
	v_pk_add_f32 v[62:63], v[96:97], v[62:63]                  // 000000005CF8: D3B2403E 18027D60
	v_pk_add_f32 v[62:63], v[98:99], v[62:63]                  // 000000005D00: D3B2403E 18027D62
	v_add_f32_e32 v62, v62, v63                                // 000000005D08: 027C7F3E
	v_add_f32_e32 v46, v62, v46                                // 000000005D0C: 025C5D3E
	v_perm_b32 v84, v85, v84, s49                              // 000000005D10: D1ED0054 00C6A955
	v_perm_b32 v85, v87, v86, s49                              // 000000005D18: D1ED0055 00C6AD57
	v_perm_b32 v86, v89, v88, s49                              // 000000005D20: D1ED0056 00C6B159
	v_perm_b32 v87, v91, v90, s49                              // 000000005D28: D1ED0057 00C6B55B
	v_perm_b32 v88, v93, v92, s49                              // 000000005D30: D1ED0058 00C6B95D
	v_perm_b32 v89, v95, v94, s49                              // 000000005D38: D1ED0059 00C6BD5F
	v_perm_b32 v90, v97, v96, s49                              // 000000005D40: D1ED005A 00C6C161
	v_perm_b32 v91, v99, v98, s49                              // 000000005D48: D1ED005B 00C6C563
	v_mfma_f32_32x32x8_bf16 v[68:83], a[94:95], a[46:47], v[68:83]// 000000005D50: D3E00044 1D125D5E
	s_add_u32 m0, 0x440, m0                                    // 000000005D58: 807C7CFF 00000440
	buffer_load_dword v27, s[12:15], s60 offen lds             // 000000005D60: E0511000 3C03001B
	s_add_i32 s60, s43, s60                                    // 000000005D68: 813C3C2B
	s_cmp_lt_i32 s52, s54                                      // 000000005D6C: BF043634
	s_cbranch_scc1 label_0AE0                                  // 000000005D70: BF850043
	s_sub_i32 s40, s7, s52                                     // 000000005D74: 81A83407
	v_sub_i32 v40, s40, v54                                    // 000000005D78: D29D0028 00026C28
	v_cmp_lt_i32_e64 s[72:73], 0, v40                          // 000000005D80: D0C10048 00025080
	v_cmp_lt_i32_e64 s[74:75], 1, v40                          // 000000005D88: D0C1004A 00025081
	v_cndmask_b32_e64 v68, v55, v68, s[72:73]                  // 000000005D90: D1000044 01228937
	v_cndmask_b32_e64 v69, v55, v69, s[74:75]                  // 000000005D98: D1000045 012A8B37
	v_cmp_lt_i32_e64 s[72:73], 2, v40                          // 000000005DA0: D0C10048 00025082
	v_cmp_lt_i32_e64 s[74:75], 3, v40                          // 000000005DA8: D0C1004A 00025083
	v_cndmask_b32_e64 v70, v55, v70, s[72:73]                  // 000000005DB0: D1000046 01228D37
	v_cndmask_b32_e64 v71, v55, v71, s[74:75]                  // 000000005DB8: D1000047 012A8F37
	v_cmp_lt_i32_e64 s[72:73], 8, v40                          // 000000005DC0: D0C10048 00025088
	v_cmp_lt_i32_e64 s[74:75], 9, v40                          // 000000005DC8: D0C1004A 00025089
	v_cndmask_b32_e64 v72, v55, v72, s[72:73]                  // 000000005DD0: D1000048 01229137
	v_cndmask_b32_e64 v73, v55, v73, s[74:75]                  // 000000005DD8: D1000049 012A9337
	v_cmp_lt_i32_e64 s[72:73], 10, v40                         // 000000005DE0: D0C10048 0002508A
	v_cmp_lt_i32_e64 s[74:75], 11, v40                         // 000000005DE8: D0C1004A 0002508B
	v_cndmask_b32_e64 v74, v55, v74, s[72:73]                  // 000000005DF0: D100004A 01229537
	v_cndmask_b32_e64 v75, v55, v75, s[74:75]                  // 000000005DF8: D100004B 012A9737
	v_cmp_lt_i32_e64 s[72:73], 16, v40                         // 000000005E00: D0C10048 00025090
	v_cmp_lt_i32_e64 s[74:75], 17, v40                         // 000000005E08: D0C1004A 00025091
	v_cndmask_b32_e64 v76, v55, v76, s[72:73]                  // 000000005E10: D100004C 01229937
	v_cndmask_b32_e64 v77, v55, v77, s[74:75]                  // 000000005E18: D100004D 012A9B37
	v_cmp_lt_i32_e64 s[72:73], 18, v40                         // 000000005E20: D0C10048 00025092
	v_cmp_lt_i32_e64 s[74:75], 19, v40                         // 000000005E28: D0C1004A 00025093
	v_cndmask_b32_e64 v78, v55, v78, s[72:73]                  // 000000005E30: D100004E 01229D37
	v_cndmask_b32_e64 v79, v55, v79, s[74:75]                  // 000000005E38: D100004F 012A9F37
	v_cmp_lt_i32_e64 s[72:73], 24, v40                         // 000000005E40: D0C10048 00025098
	v_cmp_lt_i32_e64 s[74:75], 25, v40                         // 000000005E48: D0C1004A 00025099
	v_cndmask_b32_e64 v80, v55, v80, s[72:73]                  // 000000005E50: D1000050 0122A137
	v_cndmask_b32_e64 v81, v55, v81, s[74:75]                  // 000000005E58: D1000051 012AA337
	v_cmp_lt_i32_e64 s[72:73], 26, v40                         // 000000005E60: D0C10048 0002509A
	v_cmp_lt_i32_e64 s[74:75], 27, v40                         // 000000005E68: D0C1004A 0002509B
	v_cndmask_b32_e64 v82, v55, v82, s[72:73]                  // 000000005E70: D1000052 0122A537
	v_cndmask_b32_e64 v83, v55, v83, s[74:75]                  // 000000005E78: D1000053 012AA737

0000000000005e80 <label_0AE0>:
	s_waitcnt vmcnt(12) lgkmcnt(12)                            // 000000005E80: BF8C0C7C
	s_barrier                                                  // 000000005E84: BF8A0000
	v_max3_f32 v49, v68, v69, v52                              // 000000005E88: D1D30031 04D28B44
	v_max3_f32 v49, v70, v71, v49                              // 000000005E90: D1D30031 04C68F46
	v_max3_f32 v49, v72, v73, v49                              // 000000005E98: D1D30031 04C69348
	v_max3_f32 v49, v74, v75, v49                              // 000000005EA0: D1D30031 04C6974A
	v_max3_f32 v49, v76, v77, v49                              // 000000005EA8: D1D30031 04C69B4C
	v_max3_f32 v49, v78, v79, v49                              // 000000005EB0: D1D30031 04C69F4E
	v_max3_f32 v49, v80, v81, v49                              // 000000005EB8: D1D30031 04C6A350
	v_max3_f32 v49, v82, v83, v49                              // 000000005EC0: D1D30031 04C6A752
	v_mfma_f32_32x32x8_bf16 v[100:115], a[176:177], v[84:85], v[100:115]// 000000005EC8: D3E00064 0D92A9B0
	ds_permute_b32 v48, v56, v49                               // 000000005ED0: D87C0000 30003138
	v_mfma_f32_32x32x8_bf16 v[100:115], a[178:179], v[86:87], v[100:115]// 000000005ED8: D3E00064 0D92ADB2
	buffer_load_dword v164, v28, s[16:19], s35 offen           // 000000005EE0: E0501000 2304A41C
	v_mfma_f32_32x32x8_bf16 v[100:115], a[180:181], v[88:89], v[100:115]// 000000005EE8: D3E00064 0D92B1B4
	v_perm_b32 v188, v173, v172, s50                           // 000000005EF0: D1ED00BC 00CB59AD
	v_perm_b32 v192, v173, v172, s49                           // 000000005EF8: D1ED00C0 00C759AD
	v_perm_b32 v189, v175, v174, s50                           // 000000005F00: D1ED00BD 00CB5DAF
	v_perm_b32 v193, v175, v174, s49                           // 000000005F08: D1ED00C1 00C75DAF
	v_perm_b32 v190, v177, v176, s50                           // 000000005F10: D1ED00BE 00CB61B1
	v_perm_b32 v194, v177, v176, s49                           // 000000005F18: D1ED00C2 00C761B1
	v_perm_b32 v191, v179, v178, s50                           // 000000005F20: D1ED00BF 00CB65B3
	v_perm_b32 v195, v179, v178, s49                           // 000000005F28: D1ED00C3 00C765B3
	v_mfma_f32_32x32x8_bf16 v[100:115], a[182:183], v[90:91], v[100:115]// 000000005F30: D3E00064 0D92B5B6
	buffer_load_dword v165, v29, s[16:19], s35 offen           // 000000005F38: E0501000 2304A51D
	v_mfma_f32_32x32x8_bf16 v[116:131], a[184:185], v[84:85], v[116:131]// 000000005F40: D3E00074 0DD2A9B8
	v_mfma_f32_32x32x8_bf16 v[116:131], a[186:187], v[86:87], v[116:131]// 000000005F48: D3E00074 0DD2ADBA
	buffer_load_dword v166, v30, s[16:19], s35 offen           // 000000005F50: E0501000 2304A61E
	s_waitcnt lgkmcnt(0)                                       // 000000005F58: BF8CC07F
	s_nop 0                                                    // 000000005F5C: BF800000
	v_mfma_f32_32x32x8_bf16 v[116:131], a[188:189], v[88:89], v[116:131]// 000000005F60: D3E00074 0DD2B1BC
	v_mfma_f32_32x32x8_bf16 v[116:131], a[190:191], v[90:91], v[116:131]// 000000005F68: D3E00074 0DD2B5BE
	buffer_load_dword v167, v31, s[16:19], s35 offen           // 000000005F70: E0501000 2304A71F
	ds_read_b128 a[144:147], v37 offset:26112                  // 000000005F78: DBFE6600 90000025
	ds_read_b128 a[148:151], v37 offset:28160                  // 000000005F80: DBFE6E00 94000025
	ds_read_b128 a[152:155], v37 offset:26368                  // 000000005F88: DBFE6700 98000025
	ds_read_b128 a[156:159], v37 offset:28416                  // 000000005F90: DBFE6F00 9C000025
	v_mfma_f32_32x32x8_bf16 v[132:147], a[192:193], v[84:85], v[132:147]// 000000005F98: D3E00084 0E12A9C0
	v_mfma_f32_32x32x8_bf16 v[132:147], a[194:195], v[86:87], v[132:147]// 000000005FA0: D3E00084 0E12ADC2
	buffer_load_dword v168, v32, s[16:19], s35 offen           // 000000005FA8: E0501000 2304A820
	v_mfma_f32_32x32x8_bf16 v[132:147], a[196:197], v[88:89], v[132:147]// 000000005FB0: D3E00084 0E12B1C4
	v_mfma_f32_32x32x8_bf16 v[132:147], a[198:199], v[90:91], v[132:147]// 000000005FB8: D3E00084 0E12B5C6
	buffer_load_dword v169, v33, s[16:19], s35 offen           // 000000005FC0: E0501000 2304A921
	ds_read_b128 a[160:163], v37 offset:26624                  // 000000005FC8: DBFE6800 A0000025
	ds_read_b128 a[164:167], v37 offset:28672                  // 000000005FD0: DBFE7000 A4000025
	ds_read_b128 a[168:171], v37 offset:26880                  // 000000005FD8: DBFE6900 A8000025
	ds_read_b128 a[172:175], v37 offset:28928                  // 000000005FE0: DBFE7100 AC000025
	v_mfma_f32_32x32x8_bf16 v[148:163], a[200:201], v[84:85], v[148:163]// 000000005FE8: D3E00094 0E52A9C8
	v_mfma_f32_32x32x8_bf16 v[148:163], a[202:203], v[86:87], v[148:163]// 000000005FF0: D3E00094 0E52ADCA
	buffer_load_dword v170, v34, s[16:19], s35 offen           // 000000005FF8: E0501000 2304AA22
	v_mfma_f32_32x32x8_bf16 v[148:163], a[204:205], v[88:89], v[148:163]// 000000006000: D3E00094 0E52B1CC
	v_max_f32_e32 v49, v48, v49                                // 000000006008: 16626330
	v_sub_f32_e32 v44, v52, v49                                // 00000000600C: 04586334
	v_mov_b32_e32 v52, v49                                     // 000000006010: 7E680331
	v_mul_f32_e32 v51, s56, v49                                // 000000006014: 0A666238
	v_mul_f32_e32 v44, s56, v44                                // 000000006018: 0A585838
	v_exp_f32_e32 v44, v44                                     // 00000000601C: 7E58412C
	v_add_f32_e64 v60, 0, -v51                                 // 000000006020: D101003C 40026680
	v_mov_b32_e32 v61, v60                                     // 000000006028: 7E7A033C
	s_nop 0                                                    // 00000000602C: BF800000
	v_pk_fma_f32 v[68:69], v[68:69], s[56:57], v[60:61]        // 000000006030: D3B04044 1CF07144
	v_pk_fma_f32 v[70:71], v[70:71], s[56:57], v[60:61]        // 000000006038: D3B04046 1CF07146
	v_pk_fma_f32 v[72:73], v[72:73], s[56:57], v[60:61]        // 000000006040: D3B04048 1CF07148
	v_pk_fma_f32 v[74:75], v[74:75], s[56:57], v[60:61]        // 000000006048: D3B0404A 1CF0714A
	v_pk_fma_f32 v[76:77], v[76:77], s[56:57], v[60:61]        // 000000006050: D3B0404C 1CF0714C
	v_pk_fma_f32 v[78:79], v[78:79], s[56:57], v[60:61]        // 000000006058: D3B0404E 1CF0714E
	v_pk_fma_f32 v[80:81], v[80:81], s[56:57], v[60:61]        // 000000006060: D3B04050 1CF07150
	v_pk_fma_f32 v[82:83], v[82:83], s[56:57], v[60:61]        // 000000006068: D3B04052 1CF07152
	v_mfma_f32_32x32x8_bf16 v[148:163], a[206:207], v[90:91], v[148:163]// 000000006070: D3E00094 0E52B5CE
	buffer_load_dword v171, v35, s[16:19], s35 offen           // 000000006078: E0501000 2304AB23
	s_add_i32 s35, s44, s35                                    // 000000006080: 8123232C
	s_add_i32 s52, s52, s53                                    // 000000006084: 81343534
	s_addk_i32 s39, 0x20                                       // 000000006088: B7270020
	s_cmp_lt_i32 s39, s38                                      // 00000000608C: BF042627
	s_nop 0                                                    // 000000006090: BF800000
	v_mov_b32_e32 v45, v44                                     // 000000006094: 7E5A032C
	v_mul_f32_e32 v100, v44, v100                              // 000000006098: 0AC8C92C
	v_mul_f32_e32 v101, v44, v101                              // 00000000609C: 0ACACB2C
	v_pk_mul_f32 v[102:103], v[44:45], v[102:103]              // 0000000060A0: D3B14066 1802CD2C
	v_pk_mul_f32 v[104:105], v[44:45], v[104:105]              // 0000000060A8: D3B14068 1802D12C
	v_pk_mul_f32 v[106:107], v[44:45], v[106:107]              // 0000000060B0: D3B1406A 1802D52C
	v_pk_mul_f32 v[108:109], v[44:45], v[108:109]              // 0000000060B8: D3B1406C 1802D92C
	v_pk_mul_f32 v[110:111], v[44:45], v[110:111]              // 0000000060C0: D3B1406E 1802DD2C
	v_pk_mul_f32 v[112:113], v[44:45], v[112:113]              // 0000000060C8: D3B14070 1802E12C
	v_pk_mul_f32 v[114:115], v[44:45], v[114:115]              // 0000000060D0: D3B14072 1802E52C
	v_pk_mul_f32 v[116:117], v[44:45], v[116:117]              // 0000000060D8: D3B14074 1802E92C
	v_pk_mul_f32 v[118:119], v[44:45], v[118:119]              // 0000000060E0: D3B14076 1802ED2C
	v_pk_mul_f32 v[120:121], v[44:45], v[120:121]              // 0000000060E8: D3B14078 1802F12C
	v_pk_mul_f32 v[122:123], v[44:45], v[122:123]              // 0000000060F0: D3B1407A 1802F52C
	v_pk_mul_f32 v[124:125], v[44:45], v[124:125]              // 0000000060F8: D3B1407C 1802F92C
	v_pk_mul_f32 v[126:127], v[44:45], v[126:127]              // 000000006100: D3B1407E 1802FD2C
	v_pk_mul_f32 v[128:129], v[44:45], v[128:129]              // 000000006108: D3B14080 1803012C
	v_pk_mul_f32 v[130:131], v[44:45], v[130:131]              // 000000006110: D3B14082 1803052C
	v_pk_mul_f32 v[132:133], v[44:45], v[132:133]              // 000000006118: D3B14084 1803092C
	v_pk_mul_f32 v[134:135], v[44:45], v[134:135]              // 000000006120: D3B14086 18030D2C
	v_pk_mul_f32 v[136:137], v[44:45], v[136:137]              // 000000006128: D3B14088 1803112C
	v_pk_mul_f32 v[138:139], v[44:45], v[138:139]              // 000000006130: D3B1408A 1803152C
	v_pk_mul_f32 v[140:141], v[44:45], v[140:141]              // 000000006138: D3B1408C 1803192C
	v_pk_mul_f32 v[142:143], v[44:45], v[142:143]              // 000000006140: D3B1408E 18031D2C
	v_pk_mul_f32 v[144:145], v[44:45], v[144:145]              // 000000006148: D3B14090 1803212C
	v_pk_mul_f32 v[146:147], v[44:45], v[146:147]              // 000000006150: D3B14092 1803252C
	v_pk_mul_f32 v[148:149], v[44:45], v[148:149]              // 000000006158: D3B14094 1803292C
	v_pk_mul_f32 v[150:151], v[44:45], v[150:151]              // 000000006160: D3B14096 18032D2C
	v_pk_mul_f32 v[152:153], v[44:45], v[152:153]              // 000000006168: D3B14098 1803312C
	v_pk_mul_f32 v[154:155], v[44:45], v[154:155]              // 000000006170: D3B1409A 1803352C
	v_pk_mul_f32 v[156:157], v[44:45], v[156:157]              // 000000006178: D3B1409C 1803392C
	v_pk_mul_f32 v[158:159], v[44:45], v[158:159]              // 000000006180: D3B1409E 18033D2C
	v_pk_mul_f32 v[160:161], v[44:45], v[160:161]              // 000000006188: D3B140A0 1803412C
	v_pk_mul_f32 v[162:163], v[44:45], v[162:163]              // 000000006190: D3B140A2 1803452C
	s_cbranch_scc0 label_0BA8                                  // 000000006198: BF840001
	s_branch label_082F                                        // 00000000619C: BF82FC87

00000000000061a0 <label_0BA8>:
	s_add_u32 s40, s38, 31                                     // 0000000061A0: 80289F26
	s_lshr_b32 s40, s40, 5                                     // 0000000061A4: 8F288528
	s_and_b32 s40, 1, s40                                      // 0000000061A8: 86282881
	s_cmp_lt_i32 s40, 1                                        // 0000000061AC: BF048128
	s_cbranch_scc0 label_0C03                                  // 0000000061B0: BF840056
	s_nop 0                                                    // 0000000061B4: BF800000
	s_nop 0                                                    // 0000000061B8: BF800000
	v_exp_f32_e32 v84, v84                                     // 0000000061BC: 7EA84154
	v_exp_f32_e32 v85, v85                                     // 0000000061C0: 7EAA4155
	v_exp_f32_e32 v86, v86                                     // 0000000061C4: 7EAC4156
	v_exp_f32_e32 v87, v87                                     // 0000000061C8: 7EAE4157
	v_exp_f32_e32 v88, v88                                     // 0000000061CC: 7EB04158
	v_exp_f32_e32 v89, v89                                     // 0000000061D0: 7EB24159
	v_exp_f32_e32 v90, v90                                     // 0000000061D4: 7EB4415A
	v_exp_f32_e32 v91, v91                                     // 0000000061D8: 7EB6415B
	v_exp_f32_e32 v92, v92                                     // 0000000061DC: 7EB8415C
	v_exp_f32_e32 v93, v93                                     // 0000000061E0: 7EBA415D
	v_exp_f32_e32 v94, v94                                     // 0000000061E4: 7EBC415E
	v_exp_f32_e32 v95, v95                                     // 0000000061E8: 7EBE415F
	v_exp_f32_e32 v96, v96                                     // 0000000061EC: 7EC04160
	v_exp_f32_e32 v97, v97                                     // 0000000061F0: 7EC24161
	v_exp_f32_e32 v98, v98                                     // 0000000061F4: 7EC44162
	v_exp_f32_e32 v99, v99                                     // 0000000061F8: 7EC64163
	v_mul_f32_e32 v46, v44, v46                                // 0000000061FC: 0A5C5D2C
	v_pk_add_f32 v[62:63], v[84:85], v[86:87]                  // 000000006200: D3B2403E 1802AD54
	v_pk_add_f32 v[62:63], v[88:89], v[62:63]                  // 000000006208: D3B2403E 18027D58
	v_pk_add_f32 v[62:63], v[90:91], v[62:63]                  // 000000006210: D3B2403E 18027D5A
	v_pk_add_f32 v[62:63], v[92:93], v[62:63]                  // 000000006218: D3B2403E 18027D5C
	v_pk_add_f32 v[62:63], v[94:95], v[62:63]                  // 000000006220: D3B2403E 18027D5E
	v_pk_add_f32 v[62:63], v[96:97], v[62:63]                  // 000000006228: D3B2403E 18027D60
	v_pk_add_f32 v[62:63], v[98:99], v[62:63]                  // 000000006230: D3B2403E 18027D62
	v_add_f32_e32 v62, v62, v63                                // 000000006238: 027C7F3E
	v_add_f32_e32 v46, v62, v46                                // 00000000623C: 025C5D3E
	v_perm_b32 v84, v85, v84, s49                              // 000000006240: D1ED0054 00C6A955
	v_perm_b32 v85, v87, v86, s49                              // 000000006248: D1ED0055 00C6AD57
	v_perm_b32 v86, v89, v88, s49                              // 000000006250: D1ED0056 00C6B159
	v_perm_b32 v87, v91, v90, s49                              // 000000006258: D1ED0057 00C6B55B
	v_perm_b32 v88, v93, v92, s49                              // 000000006260: D1ED0058 00C6B95D
	v_perm_b32 v89, v95, v94, s49                              // 000000006268: D1ED0059 00C6BD5F
	v_perm_b32 v90, v97, v96, s49                              // 000000006270: D1ED005A 00C6C161
	v_perm_b32 v91, v99, v98, s49                              // 000000006278: D1ED005B 00C6C563
	s_waitcnt lgkmcnt(0)                                       // 000000006280: BF8CC07F
	s_nop 0                                                    // 000000006284: BF800000
	v_mfma_f32_32x32x8_bf16 v[100:115], a[176:177], v[84:85], v[100:115]// 000000006288: D3E00064 0D92A9B0
	v_mfma_f32_32x32x8_bf16 v[100:115], a[178:179], v[86:87], v[100:115]// 000000006290: D3E00064 0D92ADB2
	v_mfma_f32_32x32x8_bf16 v[100:115], a[180:181], v[88:89], v[100:115]// 000000006298: D3E00064 0D92B1B4
	v_mfma_f32_32x32x8_bf16 v[100:115], a[182:183], v[90:91], v[100:115]// 0000000062A0: D3E00064 0D92B5B6
	v_mfma_f32_32x32x8_bf16 v[116:131], a[184:185], v[84:85], v[116:131]// 0000000062A8: D3E00074 0DD2A9B8
	v_mfma_f32_32x32x8_bf16 v[116:131], a[186:187], v[86:87], v[116:131]// 0000000062B0: D3E00074 0DD2ADBA
	v_mfma_f32_32x32x8_bf16 v[116:131], a[188:189], v[88:89], v[116:131]// 0000000062B8: D3E00074 0DD2B1BC
	v_mfma_f32_32x32x8_bf16 v[116:131], a[190:191], v[90:91], v[116:131]// 0000000062C0: D3E00074 0DD2B5BE
	v_mfma_f32_32x32x8_bf16 v[132:147], a[192:193], v[84:85], v[132:147]// 0000000062C8: D3E00084 0E12A9C0
	v_mfma_f32_32x32x8_bf16 v[132:147], a[194:195], v[86:87], v[132:147]// 0000000062D0: D3E00084 0E12ADC2
	v_mfma_f32_32x32x8_bf16 v[132:147], a[196:197], v[88:89], v[132:147]// 0000000062D8: D3E00084 0E12B1C4
	v_mfma_f32_32x32x8_bf16 v[132:147], a[198:199], v[90:91], v[132:147]// 0000000062E0: D3E00084 0E12B5C6
	v_mfma_f32_32x32x8_bf16 v[148:163], a[200:201], v[84:85], v[148:163]// 0000000062E8: D3E00094 0E52A9C8
	v_mfma_f32_32x32x8_bf16 v[148:163], a[202:203], v[86:87], v[148:163]// 0000000062F0: D3E00094 0E52ADCA
	v_mfma_f32_32x32x8_bf16 v[148:163], a[204:205], v[88:89], v[148:163]// 0000000062F8: D3E00094 0E52B1CC
	v_mfma_f32_32x32x8_bf16 v[148:163], a[206:207], v[90:91], v[148:163]// 000000006300: D3E00094 0E52B5CE
	s_branch label_0C58                                        // 000000006308: BF820055

000000000000630c <label_0C03>:
	s_nop 0                                                    // 00000000630C: BF800000
	s_nop 0                                                    // 000000006310: BF800000
	v_exp_f32_e32 v68, v68                                     // 000000006314: 7E884144
	v_exp_f32_e32 v69, v69                                     // 000000006318: 7E8A4145
	v_exp_f32_e32 v70, v70                                     // 00000000631C: 7E8C4146
	v_exp_f32_e32 v71, v71                                     // 000000006320: 7E8E4147
	v_exp_f32_e32 v72, v72                                     // 000000006324: 7E904148
	v_exp_f32_e32 v73, v73                                     // 000000006328: 7E924149
	v_exp_f32_e32 v74, v74                                     // 00000000632C: 7E94414A
	v_exp_f32_e32 v75, v75                                     // 000000006330: 7E96414B
	v_exp_f32_e32 v76, v76                                     // 000000006334: 7E98414C
	v_exp_f32_e32 v77, v77                                     // 000000006338: 7E9A414D
	v_exp_f32_e32 v78, v78                                     // 00000000633C: 7E9C414E
	v_exp_f32_e32 v79, v79                                     // 000000006340: 7E9E414F
	v_exp_f32_e32 v80, v80                                     // 000000006344: 7EA04150
	v_exp_f32_e32 v81, v81                                     // 000000006348: 7EA24151
	v_exp_f32_e32 v82, v82                                     // 00000000634C: 7EA44152
	v_exp_f32_e32 v83, v83                                     // 000000006350: 7EA64153
	v_mul_f32_e32 v46, v44, v46                                // 000000006354: 0A5C5D2C
	v_pk_add_f32 v[62:63], v[68:69], v[70:71]                  // 000000006358: D3B2403E 18028D44
	v_pk_add_f32 v[62:63], v[72:73], v[62:63]                  // 000000006360: D3B2403E 18027D48
	v_pk_add_f32 v[62:63], v[74:75], v[62:63]                  // 000000006368: D3B2403E 18027D4A
	v_pk_add_f32 v[62:63], v[76:77], v[62:63]                  // 000000006370: D3B2403E 18027D4C
	v_pk_add_f32 v[62:63], v[78:79], v[62:63]                  // 000000006378: D3B2403E 18027D4E
	v_pk_add_f32 v[62:63], v[80:81], v[62:63]                  // 000000006380: D3B2403E 18027D50
	v_pk_add_f32 v[62:63], v[82:83], v[62:63]                  // 000000006388: D3B2403E 18027D52
	v_add_f32_e32 v62, v62, v63                                // 000000006390: 027C7F3E
	v_add_f32_e32 v46, v62, v46                                // 000000006394: 025C5D3E
	v_perm_b32 v68, v69, v68, s49                              // 000000006398: D1ED0044 00C68945
	v_perm_b32 v69, v71, v70, s49                              // 0000000063A0: D1ED0045 00C68D47
	v_perm_b32 v70, v73, v72, s49                              // 0000000063A8: D1ED0046 00C69149
	v_perm_b32 v71, v75, v74, s49                              // 0000000063B0: D1ED0047 00C6954B
	v_perm_b32 v72, v77, v76, s49                              // 0000000063B8: D1ED0048 00C6994D
	v_perm_b32 v73, v79, v78, s49                              // 0000000063C0: D1ED0049 00C69D4F
	v_perm_b32 v74, v81, v80, s49                              // 0000000063C8: D1ED004A 00C6A151
	v_perm_b32 v75, v83, v82, s49                              // 0000000063D0: D1ED004B 00C6A553
	s_waitcnt lgkmcnt(0)                                       // 0000000063D8: BF8CC07F
	s_nop 0                                                    // 0000000063DC: BF800000
	v_mfma_f32_32x32x8_bf16 v[100:115], a[144:145], v[68:69], v[100:115]// 0000000063E0: D3E00064 0D928990
	v_mfma_f32_32x32x8_bf16 v[100:115], a[146:147], v[70:71], v[100:115]// 0000000063E8: D3E00064 0D928D92
	v_mfma_f32_32x32x8_bf16 v[100:115], a[148:149], v[72:73], v[100:115]// 0000000063F0: D3E00064 0D929194
	v_mfma_f32_32x32x8_bf16 v[100:115], a[150:151], v[74:75], v[100:115]// 0000000063F8: D3E00064 0D929596
	v_mfma_f32_32x32x8_bf16 v[116:131], a[152:153], v[68:69], v[116:131]// 000000006400: D3E00074 0DD28998
	v_mfma_f32_32x32x8_bf16 v[116:131], a[154:155], v[70:71], v[116:131]// 000000006408: D3E00074 0DD28D9A
	v_mfma_f32_32x32x8_bf16 v[116:131], a[156:157], v[72:73], v[116:131]// 000000006410: D3E00074 0DD2919C
	v_mfma_f32_32x32x8_bf16 v[116:131], a[158:159], v[74:75], v[116:131]// 000000006418: D3E00074 0DD2959E
	v_mfma_f32_32x32x8_bf16 v[132:147], a[160:161], v[68:69], v[132:147]// 000000006420: D3E00084 0E1289A0
	v_mfma_f32_32x32x8_bf16 v[132:147], a[162:163], v[70:71], v[132:147]// 000000006428: D3E00084 0E128DA2
	v_mfma_f32_32x32x8_bf16 v[132:147], a[164:165], v[72:73], v[132:147]// 000000006430: D3E00084 0E1291A4
	v_mfma_f32_32x32x8_bf16 v[132:147], a[166:167], v[74:75], v[132:147]// 000000006438: D3E00084 0E1295A6
	v_mfma_f32_32x32x8_bf16 v[148:163], a[168:169], v[68:69], v[148:163]// 000000006440: D3E00094 0E5289A8
	v_mfma_f32_32x32x8_bf16 v[148:163], a[170:171], v[70:71], v[148:163]// 000000006448: D3E00094 0E528DAA
	v_mfma_f32_32x32x8_bf16 v[148:163], a[172:173], v[72:73], v[148:163]// 000000006450: D3E00094 0E5291AC
	v_mfma_f32_32x32x8_bf16 v[148:163], a[174:175], v[74:75], v[148:163]// 000000006458: D3E00094 0E5295AE

0000000000006460 <label_0C58>:
	v_cvt_f32_u32_e32 v40, s62                                 // 000000006460: 7E500C3E
	s_sub_i32 s40, 0, s62                                      // 000000006464: 81A83E80
	v_rcp_iflag_f32_e32 v40, v40                               // 000000006468: 7E504728
	s_nop 0                                                    // 00000000646C: BF800000
	v_mul_f32_e32 v40, 0x4f7ffffe, v40                         // 000000006470: 0A5050FF 4F7FFFFE
	v_cvt_u32_f32_e32 v40, v40                                 // 000000006478: 7E500F28
	v_mul_lo_u32 v41, s40, v40                                 // 00000000647C: D2850029 00025028
	v_mul_hi_u32 v41, v40, v41                                 // 000000006484: D2860029 00025328
	v_add_u32_e32 v40, v40, v41                                // 00000000648C: 68505328
	v_mul_hi_u32 v40, s63, v40                                 // 000000006490: D2860028 0002503F
	v_mul_lo_u32 v41, v40, s62                                 // 000000006498: D2850029 00007D28
	v_sub_u32_e32 v43, s63, v41                                // 0000000064A0: 6A56523F
	v_add_u32_e32 v42, 1, v40                                  // 0000000064A4: 68545081
	v_cmp_le_u32_e32 vcc, s62, v43                             // 0000000064A8: 7D96563E
	v_subrev_u32_e32 v41, s62, v43                             // 0000000064AC: 6C52563E
	s_nop 0                                                    // 0000000064B0: BF800000
	v_cndmask_b32_e32 v40, v40, v42, vcc                       // 0000000064B4: 00505528
	v_cndmask_b32_e32 v43, v43, v41, vcc                       // 0000000064B8: 0056532B
	v_add_u32_e32 v41, 1, v40                                  // 0000000064BC: 68525081
	v_cmp_le_u32_e32 vcc, s62, v43                             // 0000000064C0: 7D96563E
	s_nop 1                                                    // 0000000064C4: BF800001
	v_cndmask_b32_e32 v43, v40, v41, vcc                       // 0000000064C8: 00565328
	s_nop 3                                                    // 0000000064CC: BF800003
	v_readfirstlane_b32 s63, v43                               // 0000000064D0: 7E7E052B
	s_nop 3                                                    // 0000000064D4: BF800003
	s_mul_i32 s63, s63, s83                                    // 0000000064D8: 923F533F
	v_lshrrev_b32_e32 v40, 3, v0                               // 0000000064DC: 20500083
	v_mul_i32_i24_e32 v28, s83, v40                            // 0000000064E0: 0C385053
	v_and_b32_e32 v40, 7, v0                                   // 0000000064E4: 26500087
	v_mul_i32_i24_e32 v40, 16, v40                             // 0000000064E8: 0C505090
	v_add_u32_e32 v28, v40, v28                                // 0000000064EC: 68383928
	s_mul_i32 s40, s5, s83                                     // 0000000064F0: 92285305
	s_mul_i32 s40, s40, 32                                     // 0000000064F4: 9228A028
	s_add_u32 s40, s63, s40                                    // 0000000064F8: 8028283F
	v_add_u32_e32 v28, s40, v28                                // 0000000064FC: 68383828
	s_mul_i32 s40, s83, 8                                      // 000000006500: 92288853
	v_add_u32_e32 v29, s40, v28                                // 000000006504: 683A3828
	v_add_u32_e32 v30, s40, v29                                // 000000006508: 683C3A28
	v_add_u32_e32 v31, s40, v30                                // 00000000650C: 683E3C28
	s_mul_i32 s40, s4, 0x80                                    // 000000006510: 9228FF04 00000080
	v_and_b32_e32 v3, 31, v0                                   // 000000006518: 2606009F
	v_add_u32_e32 v3, s40, v3                                  // 00000000651C: 68060628
	s_mul_i32 s40, s5, 32                                      // 000000006520: 9228A005
	v_add_u32_e32 v3, s40, v3                                  // 000000006524: 68060628
	v_lshlrev_b32_e32 v3, 2, v3                                // 000000006528: 24060682
	ds_permute_b32 v40, v56, v46                               // 00000000652C: D87C0000 28002E38
	s_waitcnt lgkmcnt(0)                                       // 000000006534: BF8CC07F
	v_add_f32_e32 v46, v40, v46                                // 000000006538: 025C5D28
	v_mul_f32_e64 v40, v52, s28                                // 00000000653C: D1050028 00003934
	v_log_f32_e32 v41, v46                                     // 000000006544: 7E52432E
	v_cmp_eq_f32_e64 s[40:41], v46, 0                          // 000000006548: D0420028 0001012E
	s_nop 1                                                    // 000000006550: BF800001
	v_rcp_f32_e32 v46, v46                                     // 000000006554: 7E5C452E
	s_nop 1                                                    // 000000006558: BF800001
	v_cndmask_b32_e64 v46, v46, 0, s[40:41]                    // 00000000655C: D100002E 00A1012E
	v_fma_f32 v2, v41, s45, v40                                // 000000006564: D1CB0002 04A05B29
	v_mov_b32_e32 v47, v46                                     // 00000000656C: 7E5E032E
	v_lshrrev_b32_e32 v40, 5, v0                               // 000000006570: 20500085
	v_mul_i32_i24_e32 v59, 0x42, v40                           // 000000006574: 0C7650FF 00000042
	v_and_b32_e32 v40, 31, v0                                  // 00000000657C: 2650009F
	v_mul_i32_i24_e32 v40, 2, v40                              // 000000006580: 0C505082
	v_add_u32_e32 v59, v40, v59                                // 000000006584: 68767728
	s_mul_i32 s40, s5, 0x420                                   // 000000006588: 9228FF05 00000420
	v_add_u32_e32 v59, s40, v59                                // 000000006590: 68767628
	v_lshlrev_b32_e32 v59, 2, v59                              // 000000006594: 24767682
	v_lshrrev_b32_e32 v40, 3, v0                               // 000000006598: 20500083
	v_mul_i32_i24_e32 v58, 2, v40                              // 00000000659C: 0C745082
	v_and_b32_e32 v40, 7, v0                                   // 0000000065A0: 26500087
	v_mul_i32_i24_e32 v40, 0x84, v40                           // 0000000065A4: 0C5050FF 00000084
	v_add_u32_e32 v58, v40, v58                                // 0000000065AC: 68747528
	s_mul_i32 s40, s5, 0x420                                   // 0000000065B0: 9228FF05 00000420
	v_add_u32_e32 v58, s40, v58                                // 0000000065B8: 68747428
	v_lshlrev_b32_e32 v58, 2, v58                              // 0000000065BC: 24747482
	s_waitcnt vmcnt(0) expcnt(0) lgkmcnt(0)                    // 0000000065C0: BF8C0000
	s_barrier                                                  // 0000000065C4: BF8A0000
	v_pk_mul_f32 v[100:101], v[46:47], v[100:101]              // 0000000065C8: D3B14064 1802C92E
	v_pk_mul_f32 v[102:103], v[46:47], v[102:103]              // 0000000065D0: D3B14066 1802CD2E
	v_pk_mul_f32 v[104:105], v[46:47], v[104:105]              // 0000000065D8: D3B14068 1802D12E
	v_pk_mul_f32 v[106:107], v[46:47], v[106:107]              // 0000000065E0: D3B1406A 1802D52E
	v_pk_mul_f32 v[108:109], v[46:47], v[108:109]              // 0000000065E8: D3B1406C 1802D92E
	v_pk_mul_f32 v[110:111], v[46:47], v[110:111]              // 0000000065F0: D3B1406E 1802DD2E
	v_pk_mul_f32 v[112:113], v[46:47], v[112:113]              // 0000000065F8: D3B14070 1802E12E
	v_pk_mul_f32 v[114:115], v[46:47], v[114:115]              // 000000006600: D3B14072 1802E52E
	v_pk_mul_f32 v[116:117], v[46:47], v[116:117]              // 000000006608: D3B14074 1802E92E
	v_pk_mul_f32 v[118:119], v[46:47], v[118:119]              // 000000006610: D3B14076 1802ED2E
	v_pk_mul_f32 v[120:121], v[46:47], v[120:121]              // 000000006618: D3B14078 1802F12E
	v_pk_mul_f32 v[122:123], v[46:47], v[122:123]              // 000000006620: D3B1407A 1802F52E
	v_pk_mul_f32 v[124:125], v[46:47], v[124:125]              // 000000006628: D3B1407C 1802F92E
	v_pk_mul_f32 v[126:127], v[46:47], v[126:127]              // 000000006630: D3B1407E 1802FD2E
	v_pk_mul_f32 v[128:129], v[46:47], v[128:129]              // 000000006638: D3B14080 1803012E
	v_pk_mul_f32 v[130:131], v[46:47], v[130:131]              // 000000006640: D3B14082 1803052E
	v_perm_b32 v100, v101, v100, s49                           // 000000006648: D1ED0064 00C6C965
	v_perm_b32 v101, v103, v102, s49                           // 000000006650: D1ED0065 00C6CD67
	v_perm_b32 v102, v105, v104, s49                           // 000000006658: D1ED0066 00C6D169
	v_perm_b32 v103, v107, v106, s49                           // 000000006660: D1ED0067 00C6D56B
	v_perm_b32 v104, v109, v108, s49                           // 000000006668: D1ED0068 00C6D96D
	v_perm_b32 v105, v111, v110, s49                           // 000000006670: D1ED0069 00C6DD6F
	v_perm_b32 v106, v113, v112, s49                           // 000000006678: D1ED006A 00C6E171
	v_perm_b32 v107, v115, v114, s49                           // 000000006680: D1ED006B 00C6E573
	v_perm_b32 v108, v117, v116, s49                           // 000000006688: D1ED006C 00C6E975
	v_perm_b32 v109, v119, v118, s49                           // 000000006690: D1ED006D 00C6ED77
	v_perm_b32 v110, v121, v120, s49                           // 000000006698: D1ED006E 00C6F179
	v_perm_b32 v111, v123, v122, s49                           // 0000000066A0: D1ED006F 00C6F57B
	v_perm_b32 v112, v125, v124, s49                           // 0000000066A8: D1ED0070 00C6F97D
	v_perm_b32 v113, v127, v126, s49                           // 0000000066B0: D1ED0071 00C6FD7F
	v_perm_b32 v114, v129, v128, s49                           // 0000000066B8: D1ED0072 00C70181
	v_perm_b32 v115, v131, v130, s49                           // 0000000066C0: D1ED0073 00C70583
	ds_write_b64 v59, v[100:101]                               // 0000000066C8: D89A0000 0000643B
	ds_write_b64 v59, v[102:103] offset:528                    // 0000000066D0: D89A0210 0000663B
	ds_write_b64 v59, v[104:105] offset:1056                   // 0000000066D8: D89A0420 0000683B
	ds_write_b64 v59, v[106:107] offset:1584                   // 0000000066E0: D89A0630 00006A3B
	ds_write_b64 v59, v[108:109] offset:2112                   // 0000000066E8: D89A0840 00006C3B
	ds_write_b64 v59, v[110:111] offset:2640                   // 0000000066F0: D89A0A50 00006E3B
	ds_write_b64 v59, v[112:113] offset:3168                   // 0000000066F8: D89A0C60 0000703B
	ds_write_b64 v59, v[114:115] offset:3696                   // 000000006700: D89A0E70 0000723B
	s_waitcnt vmcnt(0) expcnt(0) lgkmcnt(0)                    // 000000006708: BF8C0000
	ds_read_b64 v[100:101], v58                                // 00000000670C: D8EC0000 6400003A
	ds_read_b64 v[102:103], v58 offset:264                     // 000000006714: D8EC0108 6600003A
	ds_read_b64 v[104:105], v58 offset:64                      // 00000000671C: D8EC0040 6800003A
	ds_read_b64 v[106:107], v58 offset:328                     // 000000006724: D8EC0148 6A00003A
	ds_read_b64 v[108:109], v58 offset:128                     // 00000000672C: D8EC0080 6C00003A
	ds_read_b64 v[110:111], v58 offset:392                     // 000000006734: D8EC0188 6E00003A
	ds_read_b64 v[112:113], v58 offset:192                     // 00000000673C: D8EC00C0 7000003A
	ds_read_b64 v[114:115], v58 offset:456                     // 000000006744: D8EC01C8 7200003A
	s_waitcnt vmcnt(0) expcnt(0) lgkmcnt(0)                    // 00000000674C: BF8C0000
	buffer_store_dwordx4 v[100:103], v28, s[20:23], 0 offen    // 000000006750: E07C1000 8005641C
	buffer_store_dwordx4 v[104:107], v29, s[20:23], 0 offen    // 000000006758: E07C1000 8005681D
	buffer_store_dwordx4 v[108:111], v30, s[20:23], 0 offen    // 000000006760: E07C1000 80056C1E
	buffer_store_dwordx4 v[112:115], v31, s[20:23], 0 offen    // 000000006768: E07C1000 8005701F
	v_pk_mul_f32 v[132:133], v[46:47], v[132:133]              // 000000006770: D3B14084 1803092E
	v_pk_mul_f32 v[134:135], v[46:47], v[134:135]              // 000000006778: D3B14086 18030D2E
	v_pk_mul_f32 v[136:137], v[46:47], v[136:137]              // 000000006780: D3B14088 1803112E
	v_pk_mul_f32 v[138:139], v[46:47], v[138:139]              // 000000006788: D3B1408A 1803152E
	v_pk_mul_f32 v[140:141], v[46:47], v[140:141]              // 000000006790: D3B1408C 1803192E
	v_pk_mul_f32 v[142:143], v[46:47], v[142:143]              // 000000006798: D3B1408E 18031D2E
	v_pk_mul_f32 v[144:145], v[46:47], v[144:145]              // 0000000067A0: D3B14090 1803212E
	v_pk_mul_f32 v[146:147], v[46:47], v[146:147]              // 0000000067A8: D3B14092 1803252E
	v_pk_mul_f32 v[148:149], v[46:47], v[148:149]              // 0000000067B0: D3B14094 1803292E
	v_pk_mul_f32 v[150:151], v[46:47], v[150:151]              // 0000000067B8: D3B14096 18032D2E
	v_pk_mul_f32 v[152:153], v[46:47], v[152:153]              // 0000000067C0: D3B14098 1803312E
	v_pk_mul_f32 v[154:155], v[46:47], v[154:155]              // 0000000067C8: D3B1409A 1803352E
	v_pk_mul_f32 v[156:157], v[46:47], v[156:157]              // 0000000067D0: D3B1409C 1803392E
	v_pk_mul_f32 v[158:159], v[46:47], v[158:159]              // 0000000067D8: D3B1409E 18033D2E
	v_pk_mul_f32 v[160:161], v[46:47], v[160:161]              // 0000000067E0: D3B140A0 1803412E
	v_pk_mul_f32 v[162:163], v[46:47], v[162:163]              // 0000000067E8: D3B140A2 1803452E
	v_perm_b32 v132, v133, v132, s49                           // 0000000067F0: D1ED0084 00C70985
	v_perm_b32 v133, v135, v134, s49                           // 0000000067F8: D1ED0085 00C70D87
	v_perm_b32 v134, v137, v136, s49                           // 000000006800: D1ED0086 00C71189
	v_perm_b32 v135, v139, v138, s49                           // 000000006808: D1ED0087 00C7158B
	v_perm_b32 v136, v141, v140, s49                           // 000000006810: D1ED0088 00C7198D
	v_perm_b32 v137, v143, v142, s49                           // 000000006818: D1ED0089 00C71D8F
	v_perm_b32 v138, v145, v144, s49                           // 000000006820: D1ED008A 00C72191
	v_perm_b32 v139, v147, v146, s49                           // 000000006828: D1ED008B 00C72593
	v_perm_b32 v140, v149, v148, s49                           // 000000006830: D1ED008C 00C72995
	v_perm_b32 v141, v151, v150, s49                           // 000000006838: D1ED008D 00C72D97
	v_perm_b32 v142, v153, v152, s49                           // 000000006840: D1ED008E 00C73199
	v_perm_b32 v143, v155, v154, s49                           // 000000006848: D1ED008F 00C7359B
	v_perm_b32 v144, v157, v156, s49                           // 000000006850: D1ED0090 00C7399D
	v_perm_b32 v145, v159, v158, s49                           // 000000006858: D1ED0091 00C73D9F
	v_perm_b32 v146, v161, v160, s49                           // 000000006860: D1ED0092 00C741A1
	v_perm_b32 v147, v163, v162, s49                           // 000000006868: D1ED0093 00C745A3
	ds_write_b64 v59, v[132:133]                               // 000000006870: D89A0000 0000843B
	ds_write_b64 v59, v[134:135] offset:528                    // 000000006878: D89A0210 0000863B
	ds_write_b64 v59, v[136:137] offset:1056                   // 000000006880: D89A0420 0000883B
	ds_write_b64 v59, v[138:139] offset:1584                   // 000000006888: D89A0630 00008A3B
	ds_write_b64 v59, v[140:141] offset:2112                   // 000000006890: D89A0840 00008C3B
	ds_write_b64 v59, v[142:143] offset:2640                   // 000000006898: D89A0A50 00008E3B
	ds_write_b64 v59, v[144:145] offset:3168                   // 0000000068A0: D89A0C60 0000903B
	ds_write_b64 v59, v[146:147] offset:3696                   // 0000000068A8: D89A0E70 0000923B
	s_waitcnt vmcnt(0) expcnt(0) lgkmcnt(0)                    // 0000000068B0: BF8C0000
	ds_read_b64 v[132:133], v58                                // 0000000068B4: D8EC0000 8400003A
	ds_read_b64 v[134:135], v58 offset:264                     // 0000000068BC: D8EC0108 8600003A
	ds_read_b64 v[136:137], v58 offset:64                      // 0000000068C4: D8EC0040 8800003A
	ds_read_b64 v[138:139], v58 offset:328                     // 0000000068CC: D8EC0148 8A00003A
	ds_read_b64 v[140:141], v58 offset:128                     // 0000000068D4: D8EC0080 8C00003A
	ds_read_b64 v[142:143], v58 offset:392                     // 0000000068DC: D8EC0188 8E00003A
	ds_read_b64 v[144:145], v58 offset:192                     // 0000000068E4: D8EC00C0 9000003A
	ds_read_b64 v[146:147], v58 offset:456                     // 0000000068EC: D8EC01C8 9200003A
	s_waitcnt vmcnt(0) expcnt(0) lgkmcnt(0)                    // 0000000068F4: BF8C0000
	buffer_store_dwordx4 v[132:135], v28, s[20:23], 0 offen offset:128// 0000000068F8: E07C1080 8005841C
	buffer_store_dwordx4 v[136:139], v29, s[20:23], 0 offen offset:128// 000000006900: E07C1080 8005881D
	buffer_store_dwordx4 v[140:143], v30, s[20:23], 0 offen offset:128// 000000006908: E07C1080 80058C1E
	buffer_store_dwordx4 v[144:147], v31, s[20:23], 0 offen offset:128// 000000006910: E07C1080 8005901F
	s_cmp_eq_u32 s37, 0                                        // 000000006918: BF068025
	s_cbranch_scc1 label_0D8E                                  // 00000000691C: BF850006
	v_cmp_ge_f32_e64 s[40:41], v2, v55                         // 000000006920: D0460028 00026F02
	v_cndmask_b32_e64 v2, v55, v2, s[40:41]                    // 000000006928: D1000002 00A20537
	buffer_store_dword v2, v3, s[24:27], 0 offen               // 000000006930: E0701000 80060203

0000000000006938 <label_0D8E>:
	s_waitcnt vmcnt(0) expcnt(0) lgkmcnt(0)                    // 000000006938: BF8C0000
	s_endpgm                                                   // 00000000693C: BF810000
